;; amdgpu-corpus repo=ROCm/hipBLASLt kind=harvested arch=n/a opt=n/a

/******************************************/
/* Begin Kernel                           */
/******************************************/
.amdgcn_target "amdgcn-amd-amdhsa--gfx942"
.text
.protected CustomGSUs_Cijk_Ailk_Bljk_F8NH_HHS_BH_MT128x16x128_MI16x16x1_16_Equality_gfx942
.globl CustomGSUs_Cijk_Ailk_Bljk_F8NH_HHS_BH_MT128x16x128_MI16x16x1_16_Equality_gfx942
.p2align 8
.type CustomGSUs_Cijk_Ailk_Bljk_F8NH_HHS_BH_MT128x16x128_MI16x16x1_16_Equality_gfx942,@function
.section .rodata,#alloc
.p2align 6
.amdhsa_kernel CustomGSUs_Cijk_Ailk_Bljk_F8NH_HHS_BH_MT128x16x128_MI16x16x1_16_Equality_gfx942
  .amdhsa_user_sgpr_kernarg_segment_ptr 1
  .amdhsa_accum_offset 256 // accvgpr offset
  .amdhsa_next_free_vgpr 264 // vgprs
  .amdhsa_next_free_sgpr 84 // sgprs
  .amdhsa_group_segment_fixed_size 38400 // lds bytes
  .amdhsa_private_segment_fixed_size 0
  .amdhsa_system_sgpr_workgroup_id_x 1
  .amdhsa_system_sgpr_workgroup_id_y 1
  .amdhsa_system_sgpr_workgroup_id_z 1
  .amdhsa_system_vgpr_workitem_id 0
  .amdhsa_float_denorm_mode_32 3
  .amdhsa_float_denorm_mode_16_64 3
  .amdhsa_user_sgpr_count 13
  .amdhsa_user_sgpr_kernarg_preload_length 11
  .amdhsa_user_sgpr_kernarg_preload_offset 0
.end_amdhsa_kernel
.text
/* Num VGPR   =256 */
/* Num AccVGPR=8 */
/* Num SGPR   =84 */

/******************************************/
/* Optimizations and Config:              */
/******************************************/
/* ThreadTile= 8 x 1 */
/* SubGroup= 16 x 16 */
/* VectorWidthA=2 */
/* VectorWidthB=1 */
/* GlobalReadVectorWidthA=8, GlobalReadVectorWidthB=8 */
/* DirectToLdsA=False */
/* DirectToLdsB=False */
/* UseSgprForGRO=1 */
.amdgpu_metadata
---
custom.config:
   InternalSupportParams:
      KernArgsVersion: 0
      SupportUserGSU: True
      SupportCustomWGM: True
      SupportCustomStaggerU: False
      UseUniversalArgs: False
amdhsa.version:
  - 1
  - 1
amdhsa.kernels:
  - .name: CustomGSUs_Cijk_Ailk_Bljk_F8NH_HHS_BH_MT128x16x128_MI16x16x1_16_Equality_gfx942
    .symbol: 'CustomGSUs_Cijk_Ailk_Bljk_F8NH_HHS_BH_MT128x16x128_MI16x16x1_16_Equality_gfx942.kd'
    .language:                   OpenCL C
    .language_version:
      - 2
      - 0
    .args:
      - .name:            SizesFree0
        .size:            4
        .offset:          0
        .value_kind:      by_value
        .value_type:      u32
      - .name:            SizesFree1
        .size:            4
        .offset:          4
        .value_kind:      by_value
        .value_type:      u32
      - .name:            SizesFree2
        .size:            4
        .offset:          8
        .value_kind:      by_value
        .value_type:      u32
      - .name:            SizesSum0
        .size:            4
        .offset:          12
        .value_kind:      by_value
        .value_type:      u32
      - .name:            D
        .size:            8
        .offset:          16
        .value_kind:      global_buffer
        .value_type:      f16
        .address_space:   generic
      - .name:            C
        .size:            8
        .offset:          24
        .value_kind:      global_buffer
        .value_type:      f16
        .address_space:   generic
      - .name:            A
        .size:            8
        .offset:          32
        .value_kind:      global_buffer
        .value_type:      f16
        .address_space:   generic
      - .name:            B
        .size:            8
        .offset:          40
        .value_kind:      global_buffer
        .value_type:      f16
        .address_space:   generic
      - .name:            strideD0
        .size:            4
        .offset:          48
        .value_kind:      by_value
        .value_type:      u32
      - .name:            strideD1
        .size:            4
        .offset:          52
        .value_kind:      by_value
        .value_type:      u32
      - .name:            strideC0
        .size:            4
        .offset:          56
        .value_kind:      by_value
        .value_type:      u32
      - .name:            strideC1
        .size:            4
        .offset:          60
        .value_kind:      by_value
        .value_type:      u32
      - .name:            strideA0
        .size:            4
        .offset:          64
        .value_kind:      by_value
        .value_type:      u32
      - .name:            strideA1
        .size:            4
        .offset:          68
        .value_kind:      by_value
        .value_type:      u32
      - .name:            strideB0
        .size:            4
        .offset:          72
        .value_kind:      by_value
        .value_type:      u32
      - .name:            strideB1
        .size:            4
        .offset:          76
        .value_kind:      by_value
        .value_type:      u32
      - .name:            alpha
        .size:            4
        .offset:          80
        .value_kind:      by_value
        .value_type:      f32
      - .name:            beta
        .size:            4
        .offset:          84
        .value_kind:      by_value
        .value_type:      f32
      - .name:            internalArgs
        .size:            4
        .offset:          88
        .value_kind:      by_value
        .value_type:      u32
      - .name:            dstD
        .size:            8
        .offset:          92
        .value_kind:      global_buffer
        .value_type:      f16
        .address_space:   generic
      - .name:            Synchronizer
        .size:            8
        .offset:          100
        .value_kind:      global_buffer
        .value_type:      f32
        .address_space:   generic
      - .name:            GSUSync
        .size:            4
        .offset:          108
        .value_kind:      by_value
        .value_type:      u32
    .group_segment_fixed_size:   38400
    .kernarg_segment_align:      8
    .kernarg_segment_size:       112
    .max_flat_workgroup_size:    256
    .private_segment_fixed_size: 0
    .sgpr_count:                 84
    .sgpr_spill_count:           0
    .vgpr_count:                 256
    .vgpr_spill_count:           0
    .wavefront_size:             64
...
.end_amdgpu_metadata
CustomGSUs_Cijk_Ailk_Bljk_F8NH_HHS_BH_MT128x16x128_MI16x16x1_16_Equality_gfx942:
.long 0xC0120700, 0x00000000
.long 0xC00A0B00, 0x00000040
	;; [unrolled: 1-line block ×4, first 2 shown]
.long 0xBF82004A
.long 0xBF800000
	;; [unrolled: 1-line block ×56, first 2 shown]
.long 0xC00209C0, 0x0000002C
.long 0xC00E0A00, 0x00000030
	;; [unrolled: 1-line block ×4, first 2 shown]
.long 0xBE9C0002
.long 0xBE9D0003
	;; [unrolled: 1-line block ×14, first 2 shown]
.long 0xBEC700FF, 0x05040100
.long 0xBEC800FF, 0x07060302
.long 0xBEFC00FF, 0x00009600
.long 0x7EBC0300
.long 0x2602BCBF
	;; [unrolled: 1-line block ×28, first 2 shown]
.long 0xBED000FF, 0x00000080
.long 0xD2850002, 0x00020450
	;; [unrolled: 1-line block ×3, first 2 shown]
.long 0x2006B88B
.long 0x24060686
	;; [unrolled: 1-line block ×5, first 2 shown]
.long 0xD2850000, 0x00020050
.long 0xD1FE005D, 0x02060300
.long 0x2004BA88
.long 0x24040485
	;; [unrolled: 1-line block ×3, first 2 shown]
.long 0x32BABAFF, 0x00008400
.long 0x2608BCBF
.long 0x20020884
	;; [unrolled: 1-line block ×5, first 2 shown]
.long 0xD2850001, 0x00020305
.long 0x68020304
.long 0x24000083
	;; [unrolled: 1-line block ×12, first 2 shown]
.long 0x106808FF, 0x00000080
.long 0xD1FE0034, 0x02066900
.long 0x200C688B
.long 0x240C0C86
	;; [unrolled: 1-line block ×3, first 2 shown]
.long 0x106A04FF, 0x00000080
.long 0xD1FE0035, 0x02066B05
.long 0x200C6A88
.long 0x240C0C85
	;; [unrolled: 1-line block ×3, first 2 shown]
.long 0x326A6AFF, 0x00008400
.long 0xBF8CC07F
.long 0x8609FF32, 0x0000FF00
.long 0x8F098809
	;; [unrolled: 2-line block ×3, first 2 shown]
.long 0x8632FF32, 0x000000FF
.long 0x7E1002FF, 0x00000080
.long 0x7E0E021C
.long 0x7E0C0D08
	;; [unrolled: 1-line block ×8, first 2 shown]
.long 0xD0CD006A, 0x00010109
.long 0xD11C6A06, 0x01A90106
.long 0x7E100290
.long 0x7E0E021D
.long 0x7E280506
.long 0x7E0C0D08
.long 0x7E0C4706
.long 0x7E120D07
.long 0x0A0C1306
.long 0x7E0C0F06
.long 0x10121106
.long 0x6A121307
.long 0xD0CD006A, 0x00010109
.long 0xD11C6A06, 0x01A90106
.long 0xBF800000
.long 0x7E2A0506
	;; [unrolled: 1-line block ×6, first 2 shown]
.long 0xD042006A, 0x00010030
.long 0xBF860001
.long 0xBE9F0080
	;; [unrolled: 1-line block ×9, first 2 shown]
.long 0xD1080007, 0x00006506
.long 0x6A0E0E03
.long 0xD0DA007E, 0x00006507
.long 0x680C0C81
.long 0x7E0E0280
	;; [unrolled: 1-line block ×18, first 2 shown]
.long 0xD1080007, 0x00001306
.long 0x6A0E0E03
.long 0xD0DA007E, 0x00001307
.long 0x680C0C81
.long 0xBEFE01C1
	;; [unrolled: 1-line block ×12, first 2 shown]
.long 0xD1080007, 0x00001306
.long 0x6A0E0E15
.long 0xD0DA007E, 0x00001307
.long 0x680C0C81
.long 0xBEFE01C1
	;; [unrolled: 1-line block ×14, first 2 shown]
.long 0xD1080007, 0x0000A106
.long 0x6A0E0E53
.long 0xD0DA007E, 0x0000A107
.long 0x680C0C81
.long 0x7E0E0280
	;; [unrolled: 1-line block ×7, first 2 shown]
.long 0xD2850006, 0x0002022C
.long 0x326C0D00
.long 0x686C6C88
	;; [unrolled: 1-line block ×9, first 2 shown]
.long 0xD2850006, 0x0002042E
.long 0x326E0D03
.long 0x686E6E88
	;; [unrolled: 1-line block ×3, first 2 shown]
.long 0x9653FF02, 0x00000080
.long 0x9252FF02, 0x00000080
	;; [unrolled: 1-line block ×4, first 2 shown]
.long 0x96512C50
.long 0x92502C50
	;; [unrolled: 1-line block ×28, first 2 shown]
.long 0xBEB700FF, 0x00020000
.long 0x96539003
.long 0x92529003
	;; [unrolled: 1-line block ×4, first 2 shown]
.long 0x965106FF, 0x00000080
.long 0x925006FF, 0x00000080
.long 0x80525052
.long 0x82535153
	;; [unrolled: 1-line block ×28, first 2 shown]
.long 0xBEBB00FF, 0x00020000
.long 0x9250FF32, 0x00000080
.long 0x92452C50
.long 0x9250FF32, 0x00000100
.long 0xBEC60050
.long 0x8F0A871F
	;; [unrolled: 1-line block ×9, first 2 shown]
.long 0xD1080001, 0x00006500
.long 0x6A02020A
.long 0xD0DA007E, 0x00006501
.long 0x68000081
.long 0x7E020280
.long 0xBEFE01C1
.long 0x7E140500
.long 0x7E0E0501
.long 0x80500A81
.long 0xBF0A0706
.long 0xBE8A0250
.long 0xBE8B000A
.long 0x8652FF33, 0x00001F00
.long 0x8F528852
.long 0x8653FF33, 0x0000E000
.long 0x8633FF33, 0x000000FF
.long 0xBED00033
.long 0x8E515250
	;; [unrolled: 1-line block ×13, first 2 shown]
.long 0xBF06FF53, 0x00002000
.long 0xBF850002
.long 0xBED00003
.long 0xBF820011
.long 0xBF06FF53, 0x00004000
.long 0xBF850002
.long 0xBED000C1
.long 0xBF82000C
.long 0xBF06FF53, 0x00006000
.long 0xBF850004
.long 0x92510314
.long 0x80505150
.long 0x80500250
.long 0xBF820005
.long 0xBF06FF53, 0x00008000
.long 0xBF850002
.long 0xBED000C1
	;; [unrolled: 1-line block ×32, first 2 shown]
.long 0xE0545000, 0x800D3A36
.long 0xE0545000, 0x490D3E36
	;; [unrolled: 1-line block ×9, first 2 shown]
.long 0x8052810A
.long 0xBF065240
.long 0x85504541
.long 0x85518042
.long 0x80345034
.long 0x82355135
.long 0x80BC503C
.long 0x82BD513D
.long 0xBF06803D
.long 0x8536C13C
.long 0x8052810A
.long 0xBF065240
.long 0x85504643
.long 0x85518044
.long 0x80385038
.long 0x82395139
.long 0x80BE503E
.long 0x82BF513F
.long 0xBF06803F
.long 0x853AC13E
.long 0xBE8C0020
.long 0xBE8D0021
.long 0xBE8E00FF, 0x80000000
.long 0xBE8F00FF, 0x00020000
.long 0xBE900022
.long 0xBE910023
.long 0xBE9200FF, 0x80000000
.long 0xBE9300FF, 0x00020000
.long 0x92520390
.long 0x96512A52
	;; [unrolled: 1-line block ×42, first 2 shown]
.long 0xD3D94000, 0x18000080
.long 0xD3D94001, 0x18000080
.long 0xD3D94002, 0x18000080
.long 0xD3D94003, 0x18000080
.long 0xD3D94004, 0x18000080
.long 0xD3D94005, 0x18000080
.long 0xD3D94006, 0x18000080
.long 0xD3D94007, 0x18000080
.long 0xBF06800A
.long 0xBF840006
	;; [unrolled: 1-line block ×3, first 2 shown]
.long 0x815284FF, 0x000017F8
.long 0x80505250
.long 0x82518051
	;; [unrolled: 1-line block ×4, first 2 shown]
.long 0x7EC0ACF9, 0x0004063A
.long 0x7E7014F9, 0x00061460
	;; [unrolled: 1-line block ×105, first 2 shown]
.long 0xBF06810A
.long 0xBF850012
.long 0xE0545000, 0x800D3A36
.long 0xE0545000, 0x490D3E36
	;; [unrolled: 1-line block ×9, first 2 shown]
.long 0xBF8CC07F
.long 0xBF8A0000
.long 0xD86C0000, 0x0400005C
.long 0xD86C0100, 0x0C00005C
	;; [unrolled: 1-line block ×5, first 2 shown]
.long 0xBF06810A
.long 0xBF850359
	;; [unrolled: 1-line block ×5, first 2 shown]
.long 0xD1ED0000, 0x011E090C
.long 0xD1ED0001, 0x011E291C
	;; [unrolled: 1-line block ×10, first 2 shown]
.long 0xBF06400A
.long 0x85504541
	;; [unrolled: 1-line block ×8, first 2 shown]
.long 0xD3CD8004, 0x04124902
.long 0xD86C2100, 0x0600005C
.long 0xD86C2200, 0x0E00005C
.long 0xD86C2300, 0x1600005C
.long 0x8536C13C
.long 0xBF8CC37F
.long 0xD1ED0000, 0x011E0B0D
.long 0xD1ED0001, 0x011E2B1D
	;; [unrolled: 1-line block ×7, first 2 shown]
.long 0xBF06400A
.long 0xD3CD8004, 0x04124D02
.long 0xD86C2500, 0x0700005C
	;; [unrolled: 1-line block ×4, first 2 shown]
.long 0x85504643
.long 0xBF8CC37F
.long 0xD1ED0000, 0x011E0D0E
.long 0xD1ED0001, 0x011E2D1E
.long 0xD1ED0002, 0x01220D0E
.long 0xD1ED0003, 0x01222D1E
.long 0xD3CD8000, 0x04025100
.long 0xD86C2800, 0x1F00005C
.long 0xD9FE00C0, 0x3000005D
.long 0x85518044
.long 0xD3CD8004, 0x04125102
.long 0xD86C4200, 0x0800005C
.long 0xD86C4300, 0x1000005C
.long 0x80385038
.long 0xBF8CC27F
.long 0xD1ED0000, 0x011E0F0F
.long 0xD1ED0001, 0x011E2F1F
.long 0xD1ED0002, 0x01220F0F
.long 0xD1ED0003, 0x01222F1F
.long 0xD3CD8000, 0x04025500
.long 0xD86C4400, 0x1800005C
.long 0xD86C4500, 0x2000005C
.long 0x82395139
.long 0xD3CD8004, 0x04125502
.long 0xD86C4600, 0x0900005C
.long 0xD86C4700, 0x1100005C
	;; [unrolled: 13-line block ×3, first 2 shown]
.long 0xD86C6500, 0x1A00005C
.long 0xD86C6600, 0x2200005C
	;; [unrolled: 1-line block ×6, first 2 shown]
.long 0xBF06803F
.long 0xBF8CC07F
	;; [unrolled: 1-line block ×4, first 2 shown]
.long 0xD1ED0000, 0x011E1311
.long 0xD1ED0001, 0x011E3321
	;; [unrolled: 1-line block ×5, first 2 shown]
.long 0x853AC13E
.long 0xBF8C0F78
.long 0x7EC0ACF9, 0x0004063A
.long 0x7E7014F9, 0x00061460
.long 0x7E7014F9, 0x00061561
.long 0x7EC0ACF9, 0x0005063A
.long 0x7E7214F9, 0x00061460
.long 0x7E7214F9, 0x00061561
.long 0x7EC0ACF9, 0x0004063B
.long 0x7E7414F9, 0x00061460
.long 0x7E7414F9, 0x00061561
.long 0x7EC0ACF9, 0x0005063B
.long 0x7E7614F9, 0x00061460
.long 0x7E7614F9, 0x00061561
.long 0xD9BE0000, 0x00003834
.long 0xE0545000, 0x800D3A36
.long 0xBF8C0F78
.long 0x7EC0ACF9, 0x0004063E
.long 0x7E7814F9, 0x00061460
.long 0x7E7814F9, 0x00061561
.long 0x7EC0ACF9, 0x0005063E
.long 0x7E7A14F9, 0x00061460
.long 0x7E7A14F9, 0x00061561
.long 0x7EC0ACF9, 0x0004063F
.long 0x7E7C14F9, 0x00061460
.long 0x7E7C14F9, 0x00061561
.long 0x7EC0ACF9, 0x0005063F
.long 0x7E7E14F9, 0x00061460
.long 0x7E7E14F9, 0x00061561
.long 0xD9BE0400, 0x00003C34
.long 0xE0545000, 0x490D3E36
	;; [unrolled: 15-line block ×8, first 2 shown]
.long 0xBF8C0F78
.long 0xD9BE0000, 0x00005835
.long 0xE05C1000, 0x800E5837
	;; [unrolled: 1-line block ×3, first 2 shown]
.long 0xBF8CCD7F
.long 0xD1ED0000, 0x011E1512
.long 0xD1ED0001, 0x011E3522
	;; [unrolled: 1-line block ×6, first 2 shown]
.long 0xBF8CC07F
.long 0xBF8A0000
	;; [unrolled: 1-line block ×3, first 2 shown]
.long 0xD1ED0000, 0x011E1713
.long 0xD1ED0001, 0x011E3723
	;; [unrolled: 1-line block ×11, first 2 shown]
.long 0x808A810A
.long 0xBF00820A
	;; [unrolled: 1-line block ×4, first 2 shown]
.long 0xD1ED0000, 0x011E090C
.long 0xD1ED0001, 0x011E291C
	;; [unrolled: 1-line block ×10, first 2 shown]
.long 0xBF06400A
.long 0x85504541
	;; [unrolled: 1-line block ×8, first 2 shown]
.long 0xD3CD8004, 0x04124902
.long 0xD86C2100, 0x0600005C
	;; [unrolled: 1-line block ×4, first 2 shown]
.long 0x8536C13C
.long 0xBF8CC37F
.long 0xD1ED0000, 0x011E0B0D
.long 0xD1ED0001, 0x011E2B1D
	;; [unrolled: 1-line block ×7, first 2 shown]
.long 0xBF06400A
.long 0xD3CD8004, 0x04124D02
.long 0xD86C2500, 0x0700005C
	;; [unrolled: 1-line block ×4, first 2 shown]
.long 0x85504643
.long 0xBF8CC37F
.long 0xD1ED0000, 0x011E0D0E
.long 0xD1ED0001, 0x011E2D1E
.long 0xD1ED0002, 0x01220D0E
.long 0xD1ED0003, 0x01222D1E
.long 0xD3CD8000, 0x04025100
.long 0xD86C2800, 0x1F00005C
.long 0xD9FE00C0, 0x3000005D
.long 0x85518044
.long 0xD3CD8004, 0x04125102
.long 0xD86C4200, 0x0800005C
.long 0xD86C4300, 0x1000005C
.long 0x80385038
.long 0xBF8CC27F
.long 0xD1ED0000, 0x011E0F0F
.long 0xD1ED0001, 0x011E2F1F
.long 0xD1ED0002, 0x01220F0F
.long 0xD1ED0003, 0x01222F1F
.long 0xD3CD8000, 0x04025500
.long 0xD86C4400, 0x1800005C
.long 0xD86C4500, 0x2000005C
.long 0x82395139
.long 0xD3CD8004, 0x04125502
.long 0xD86C4600, 0x0900005C
.long 0xD86C4700, 0x1100005C
	;; [unrolled: 13-line block ×3, first 2 shown]
.long 0xD86C6500, 0x1A00005C
.long 0xD86C6600, 0x2200005C
	;; [unrolled: 1-line block ×6, first 2 shown]
.long 0xBF06803F
.long 0xBF8CC07F
.long 0xBF8A0000
.long 0xBF8CC87F
.long 0xD1ED0000, 0x011E1311
.long 0xD1ED0001, 0x011E3321
.long 0xD1ED0002, 0x01221311
.long 0xD1ED0003, 0x01223321
.long 0xD3CD8000, 0x04025D00
.long 0x853AC13E
.long 0xBF8C0F78
.long 0x7EC0ACF9, 0x0004063A
.long 0x7E7014F9, 0x00061460
.long 0x7E7014F9, 0x00061561
.long 0x7EC0ACF9, 0x0005063A
.long 0x7E7214F9, 0x00061460
.long 0x7E7214F9, 0x00061561
.long 0x7EC0ACF9, 0x0004063B
.long 0x7E7414F9, 0x00061460
.long 0x7E7414F9, 0x00061561
.long 0x7EC0ACF9, 0x0005063B
.long 0x7E7614F9, 0x00061460
.long 0x7E7614F9, 0x00061561
.long 0xD9BE0000, 0x00003834
.long 0xBF8C0F77
.long 0x7EC0ACF9, 0x0004063E
.long 0x7E7814F9, 0x00061460
.long 0x7E7814F9, 0x00061561
.long 0x7EC0ACF9, 0x0005063E
.long 0x7E7A14F9, 0x00061460
.long 0x7E7A14F9, 0x00061561
.long 0x7EC0ACF9, 0x0004063F
.long 0x7E7C14F9, 0x00061460
.long 0x7E7C14F9, 0x00061561
.long 0x7EC0ACF9, 0x0005063F
.long 0x7E7E14F9, 0x00061460
.long 0x7E7E14F9, 0x00061561
.long 0xD9BE0400, 0x00003C34
	;; [unrolled: 14-line block ×8, first 2 shown]
.long 0xBF8C0F70
.long 0xD9BE0000, 0x00005835
.long 0xD3CD8004, 0x04125D02
.long 0xBF8CCD7F
.long 0xD1ED0000, 0x011E1512
.long 0xD1ED0001, 0x011E3522
	;; [unrolled: 1-line block ×6, first 2 shown]
.long 0xBF8CC07F
.long 0xBF8A0000
	;; [unrolled: 1-line block ×3, first 2 shown]
.long 0xD1ED0000, 0x011E1713
.long 0xD1ED0001, 0x011E3723
	;; [unrolled: 1-line block ×11, first 2 shown]
.long 0xBF068132
.long 0xBF840102
	;; [unrolled: 1-line block ×6, first 2 shown]
.long 0x86501CFF, 0x0000007F
.long 0x805114C1
.long 0xBF095102
.long 0x85508050
.long 0xB5500000
.long 0xBF8500F7
.long 0x86501D8F
.long 0x805115C1
.long 0xBF095103
.long 0x85508050
.long 0xB5500000
.long 0xBF8500F1
.long 0x86511FFF, 0x0000007F
.long 0xBF068051
.long 0xBF8400ED
	;; [unrolled: 1-line block ×3, first 2 shown]
.long 0xD1ED0000, 0x011E090C
.long 0xD1ED0001, 0x011E291C
	;; [unrolled: 1-line block ×14, first 2 shown]
.long 0xBF8CC37F
.long 0xD1ED0000, 0x011E0B0D
.long 0xD1ED0001, 0x011E2B1D
.long 0xD1ED0002, 0x01220B0D
.long 0xD1ED0003, 0x01222B1D
.long 0xD3CD8000, 0x04024D00
.long 0xD86C2400, 0x1E00005C
.long 0xD9FE0080, 0x2C00005D
.long 0xD3CD8004, 0x04124D02
.long 0xD86C2500, 0x0700005C
.long 0xD86C2600, 0x0F00005C
.long 0xD86C2700, 0x1700005C
.long 0xBF8CC37F
.long 0xD1ED0000, 0x011E0D0E
.long 0xD1ED0001, 0x011E2D1E
.long 0xD1ED0002, 0x01220D0E
.long 0xD1ED0003, 0x01222D1E
.long 0xD3CD8000, 0x04025100
.long 0xD86C2800, 0x1F00005C
.long 0xD9FE00C0, 0x3000005D
.long 0xD3CD8004, 0x04125102
.long 0xD86C4200, 0x0800005C
.long 0xD86C4300, 0x1000005C
.long 0xBF8CC27F
.long 0xD1ED0000, 0x011E0F0F
.long 0xD1ED0001, 0x011E2F1F
.long 0xD1ED0002, 0x01220F0F
.long 0xD1ED0003, 0x01222F1F
.long 0xD3CD8000, 0x04025500
.long 0xD86C4400, 0x1800005C
.long 0xD86C4500, 0x2000005C
.long 0xD3CD8004, 0x04125502
.long 0xD86C4600, 0x0900005C
.long 0xD86C4700, 0x1100005C
	;; [unrolled: 11-line block ×3, first 2 shown]
.long 0xD86C6500, 0x1A00005C
.long 0xD86C6600, 0x2200005C
	;; [unrolled: 1-line block ×6, first 2 shown]
.long 0xBF8CC07F
.long 0xBF8A0000
	;; [unrolled: 1-line block ×3, first 2 shown]
.long 0xD1ED0000, 0x011E1311
.long 0xD1ED0001, 0x011E3321
	;; [unrolled: 1-line block ×6, first 2 shown]
.long 0xBF8CC47F
.long 0xD1ED0000, 0x011E1512
.long 0xD1ED0001, 0x011E3522
	;; [unrolled: 1-line block ×6, first 2 shown]
.long 0xBF8CC07F
.long 0xD1ED0000, 0x011E1713
.long 0xD1ED0001, 0x011E3723
	;; [unrolled: 1-line block ×7, first 2 shown]
.long 0x2008BC86
.long 0x20020882
.long 0xD2850001, 0x00020290
.long 0x260ABC8F
.long 0xD1FE0001, 0x02020305
.long 0xD2850002, 0x00005501
	;; [unrolled: 1-line block ×3, first 2 shown]
.long 0x260A0883
.long 0xD2850005, 0x00020A90
.long 0x2600BCBF
.long 0x20000084
	;; [unrolled: 1-line block ×3, first 2 shown]
.long 0xD1FE0000, 0x02060105
.long 0x923302FF, 0x00000080
.long 0x68000033
.long 0x92330390
	;; [unrolled: 1-line block ×4, first 2 shown]
.long 0xD1FE0006, 0x02060103
.long 0xD3D84008, 0x18000100
	;; [unrolled: 1-line block ×9, first 2 shown]
.long 0xBF800001
.long 0xBF800000
	;; [unrolled: 1-line block ×4, first 2 shown]
.long 0xD2A00008, 0x00021308
.long 0x7E14150A
.long 0x7E16150B
.long 0xD2A00009, 0x0002170A
.long 0x7E18150C
.long 0x7E1A150D
	;; [unrolled: 3-line block ×3, first 2 shown]
.long 0xD2A0000B, 0x00021F0E
.long 0xE07CD000, 0x80030806
.long 0xBF800000
.long 0xBF800000
	;; [unrolled: 1-line block ×5, first 2 shown]
.long 0xD1ED0000, 0x011E090C
.long 0xD1ED0001, 0x011E291C
	;; [unrolled: 1-line block ×14, first 2 shown]
.long 0xBF8CC37F
.long 0xD1ED0000, 0x011E0B0D
.long 0xD1ED0001, 0x011E2B1D
	;; [unrolled: 1-line block ×11, first 2 shown]
.long 0xBF8CC37F
.long 0xD1ED0000, 0x011E0D0E
.long 0xD1ED0001, 0x011E2D1E
.long 0xD1ED0002, 0x01220D0E
.long 0xD1ED0003, 0x01222D1E
.long 0xD3CD8000, 0x04025100
.long 0xD86C2800, 0x1F00005C
.long 0xD9FE00C0, 0x3000005D
.long 0xD3CD8004, 0x04125102
.long 0xD86C4200, 0x0800005C
.long 0xD86C4300, 0x1000005C
.long 0xBF8CC27F
.long 0xD1ED0000, 0x011E0F0F
.long 0xD1ED0001, 0x011E2F1F
.long 0xD1ED0002, 0x01220F0F
.long 0xD1ED0003, 0x01222F1F
.long 0xD3CD8000, 0x04025500
.long 0xD86C4400, 0x1800005C
.long 0xD86C4500, 0x2000005C
.long 0xD3CD8004, 0x04125502
.long 0xD86C4600, 0x0900005C
.long 0xD86C4700, 0x1100005C
.long 0xBF8CC27F
.long 0xD1ED0000, 0x011E1110
.long 0xD1ED0001, 0x011E3120
.long 0xD1ED0002, 0x01221110
.long 0xD1ED0003, 0x01223120
.long 0xD3CD8000, 0x04025900
.long 0xD86C4800, 0x1900005C
.long 0xD86C4900, 0x2100005C
.long 0xD3CD8004, 0x04125902
.long 0xD86C6300, 0x0A00005C
.long 0xD86C6400, 0x1200005C
.long 0xD86C6500, 0x1A00005C
.long 0xD86C6600, 0x2200005C
	;; [unrolled: 1-line block ×6, first 2 shown]
.long 0xBF8CC07F
.long 0xBF8A0000
.long 0xBF8CC87F
.long 0xD1ED0000, 0x011E1311
.long 0xD1ED0001, 0x011E3321
	;; [unrolled: 1-line block ×6, first 2 shown]
.long 0xBF8CC47F
.long 0xD1ED0000, 0x011E1512
.long 0xD1ED0001, 0x011E3522
	;; [unrolled: 1-line block ×6, first 2 shown]
.long 0xBF8CC07F
.long 0xD1ED0000, 0x011E1713
.long 0xD1ED0001, 0x011E3723
	;; [unrolled: 1-line block ×7, first 2 shown]
.long 0xBF070706
.long 0xBE8A0280
	;; [unrolled: 1-line block ×27, first 2 shown]
.long 0xE0805000, 0x800D3A36
.long 0xE0805001, 0x800D0036
.long 0xE0845002, 0x800D0136
.long 0xE0845003, 0x800D0236
.long 0xE0805004, 0x800D3B36
.long 0xE0805005, 0x800D0436
.long 0xE0845006, 0x800D0536
.long 0xE0845007, 0x800D0636
.long 0xBF8C0F76
.long 0x24000088
.long 0x2874013A
.long 0xBF8C0F75
.long 0x2874033A
.long 0xBF8C0F74
.long 0x24040488
.long 0x2874053A
.long 0xBF8C0F72
.long 0x24080888
.long 0x2876093B
.long 0xBF8C0F71
.long 0x28760B3B
.long 0xBF8C0F70
.long 0x240C0C88
.long 0x28760D3B
.long 0xE0805000, 0x490D3E36
.long 0xE0805001, 0x490D0036
.long 0xE0845002, 0x490D0136
.long 0xE0845003, 0x490D0236
.long 0xE0805004, 0x490D3F36
.long 0xE0805005, 0x490D0436
.long 0xE0845006, 0x490D0536
.long 0xE0845007, 0x490D0636
.long 0xBF8C0F76
.long 0x24000088
.long 0x287C013E
.long 0xBF8C0F75
.long 0x287C033E
.long 0xBF8C0F74
.long 0x24040488
.long 0x287C053E
.long 0xBF8C0F72
.long 0x24080888
.long 0x287E093F
.long 0xBF8C0F71
.long 0x287E0B3F
.long 0xBF8C0F70
.long 0x240C0C88
.long 0x287E0D3F
.long 0xE0805000, 0x4A0D4236
.long 0xE0805001, 0x4A0D0036
.long 0xE0845002, 0x4A0D0136
.long 0xE0845003, 0x4A0D0236
.long 0xE0805004, 0x4A0D4336
.long 0xE0805005, 0x4A0D0436
.long 0xE0845006, 0x4A0D0536
.long 0xE0845007, 0x4A0D0636
.long 0xBF8C0F76
.long 0x24000088
.long 0x28840142
.long 0xBF8C0F75
.long 0x28840342
.long 0xBF8C0F74
.long 0x24040488
.long 0x28840542
.long 0xBF8C0F72
.long 0x24080888
.long 0x28860943
.long 0xBF8C0F71
.long 0x28860B43
.long 0xBF8C0F70
.long 0x240C0C88
.long 0x28860D43
.long 0xE0805000, 0x4B0D4636
.long 0xE0805001, 0x4B0D0036
.long 0xE0845002, 0x4B0D0136
.long 0xE0845003, 0x4B0D0236
.long 0xE0805004, 0x4B0D4736
.long 0xE0805005, 0x4B0D0436
.long 0xE0845006, 0x4B0D0536
.long 0xE0845007, 0x4B0D0636
.long 0xBF8C0F76
.long 0x24000088
.long 0x288C0146
.long 0xBF8C0F75
.long 0x288C0346
.long 0xBF8C0F74
.long 0x24040488
.long 0x288C0546
.long 0xBF8C0F72
.long 0x24080888
.long 0x288E0947
.long 0xBF8C0F71
.long 0x288E0B47
.long 0xBF8C0F70
.long 0x240C0C88
.long 0x288E0D47
.long 0xE0805000, 0x4C0D4A36
.long 0xE0805001, 0x4C0D0036
.long 0xE0845002, 0x4C0D0136
.long 0xE0845003, 0x4C0D0236
.long 0xE0805004, 0x4C0D4B36
.long 0xE0805005, 0x4C0D0436
.long 0xE0845006, 0x4C0D0536
.long 0xE0845007, 0x4C0D0636
.long 0xBF8C0F76
.long 0x24000088
.long 0x2894014A
.long 0xBF8C0F75
.long 0x2894034A
.long 0xBF8C0F74
.long 0x24040488
.long 0x2894054A
.long 0xBF8C0F72
.long 0x24080888
.long 0x2896094B
.long 0xBF8C0F71
.long 0x28960B4B
.long 0xBF8C0F70
.long 0x240C0C88
.long 0x28960D4B
.long 0xE0805000, 0x4D0D4E36
.long 0xE0805001, 0x4D0D0036
.long 0xE0845002, 0x4D0D0136
.long 0xE0845003, 0x4D0D0236
.long 0xE0805004, 0x4D0D4F36
.long 0xE0805005, 0x4D0D0436
.long 0xE0845006, 0x4D0D0536
.long 0xE0845007, 0x4D0D0636
.long 0xBF8C0F76
.long 0x24000088
.long 0x289C014E
.long 0xBF8C0F75
.long 0x289C034E
.long 0xBF8C0F74
.long 0x24040488
.long 0x289C054E
.long 0xBF8C0F72
.long 0x24080888
.long 0x289E094F
.long 0xBF8C0F71
.long 0x289E0B4F
.long 0xBF8C0F70
.long 0x240C0C88
.long 0x289E0D4F
.long 0xE0805000, 0x4E0D5236
.long 0xE0805001, 0x4E0D0036
.long 0xE0845002, 0x4E0D0136
.long 0xE0845003, 0x4E0D0236
.long 0xE0805004, 0x4E0D5336
.long 0xE0805005, 0x4E0D0436
.long 0xE0845006, 0x4E0D0536
.long 0xE0845007, 0x4E0D0636
.long 0xBF8C0F76
.long 0x24000088
.long 0x28A40152
.long 0xBF8C0F75
.long 0x28A40352
.long 0xBF8C0F74
.long 0x24040488
.long 0x28A40552
.long 0xBF8C0F72
.long 0x24080888
.long 0x28A60953
.long 0xBF8C0F71
.long 0x28A60B53
.long 0xBF8C0F70
.long 0x240C0C88
.long 0x28A60D53
.long 0xE0805000, 0x4F0D5636
.long 0xE0805001, 0x4F0D0036
.long 0xE0845002, 0x4F0D0136
.long 0xE0845003, 0x4F0D0236
.long 0xE0805004, 0x4F0D5736
.long 0xE0805005, 0x4F0D0436
.long 0xE0845006, 0x4F0D0536
.long 0xE0845007, 0x4F0D0636
.long 0xBF8C0F76
.long 0x24000088
.long 0x28AC0156
.long 0xBF8C0F75
.long 0x28AC0356
.long 0xBF8C0F74
.long 0x24040488
.long 0x28AC0556
.long 0xBF8C0F72
.long 0x24080888
.long 0x28AE0957
.long 0xBF8C0F71
.long 0x28AE0B57
.long 0xBF8C0F70
.long 0x240C0C88
.long 0x28AE0D57
.long 0xE0501000, 0x800E5837
.long 0xE0501004, 0x800E5937
	;; [unrolled: 1-line block ×4, first 2 shown]
.long 0xBF8C0F70
.long 0xBF8A0000
.long 0x7E00ACF9, 0x0004063A
.long 0x7E7014F9, 0x00061400
	;; [unrolled: 1-line block ×105, first 2 shown]
.long 0x2602BCBF
.long 0x2600028F
	;; [unrolled: 1-line block ×27, first 2 shown]
.long 0xBE8500FF, 0x00000080
.long 0xD2850002, 0x00020405
	;; [unrolled: 1-line block ×3, first 2 shown]
.long 0x2006B88B
.long 0x24060686
.long 0x68B8B903
.long 0x2000BC88
.long 0xBE850090
.long 0xD2850000, 0x00020005
.long 0xD1FE005D, 0x02060300
.long 0x2004BA88
.long 0x24040485
	;; [unrolled: 1-line block ×3, first 2 shown]
.long 0x32BABAFF, 0x00008400
.long 0xBF8CC07F
.long 0xBF8A0000
.long 0xD86C0000, 0x0400005C
.long 0xD86C0100, 0x0C00005C
.long 0xD86C0200, 0x1400005C
.long 0xD86C0300, 0x1C00005C
.long 0xD8EC0000, 0x2400005D
.long 0xBE8500FF, 0x00001080
.long 0x32B8B805
.long 0xBE8500A0
	;; [unrolled: 1-line block ×4, first 2 shown]
.long 0xD1ED0000, 0x011E090C
.long 0xD1ED0001, 0x011E291C
	;; [unrolled: 1-line block ×4, first 2 shown]
.long 0x2668BCBF
.long 0x20686884
.long 0x24686882
.long 0xD0C60050, 0x00001534
.long 0xD1000000, 0x01410100
	;; [unrolled: 1-line block ×7, first 2 shown]
.long 0xBF800001
.long 0xD3CD8000, 0x04024900
.long 0xD3CD8004, 0x04124902
.long 0x818A900A
.long 0x800B900B
	;; [unrolled: 1-line block ×4, first 2 shown]
.long 0xC00A0D00, 0x0000005C
.long 0x2008BC86
.long 0x20020882
.long 0xD2850001, 0x00020290
.long 0x260ABC8F
.long 0xD1FE0001, 0x02020305
.long 0xD2850002, 0x00005501
	;; [unrolled: 1-line block ×3, first 2 shown]
.long 0x260A0883
.long 0xD2850005, 0x00020A90
.long 0x2600BCBF
.long 0x20000084
.long 0x24000082
.long 0xD1FE0000, 0x02060105
.long 0x923302FF, 0x00000080
.long 0x68000033
.long 0x92330390
	;; [unrolled: 1-line block ×7, first 2 shown]
.long 0x813E84FF, 0x00006248
.long 0x803C3E3C
.long 0x823D803D
	;; [unrolled: 1-line block ×3, first 2 shown]
.long 0xBEBB00FF, 0x00020000
.long 0xBEBA00FF, 0x80000000
.long 0x92330390
.long 0x963D2A33
	;; [unrolled: 1-line block ×13, first 2 shown]
.long 0x863C1CFF, 0x0000007F
.long 0x803D14C1
.long 0xBF093D02
	;; [unrolled: 1-line block ×11, first 2 shown]
.long 0xD1FE0006, 0x020A0103
.long 0xD1FE0007, 0x02060103
	;; [unrolled: 1-line block ×10, first 2 shown]
.long 0xBF800001
.long 0xE07CD000, 0x80031006
.long 0xE07CD010, 0x80031406
.long 0xBF800000
.long 0x923F1415
	;; [unrolled: 1-line block ×16, first 2 shown]
.long 0xC2330CCC, 0x00000000
.long 0x9645811C
.long 0x9244811C
	;; [unrolled: 1-line block ×15, first 2 shown]
.long 0x7E1202FF, 0x80000000
.long 0xBEC40016
.long 0xBEC50017
	;; [unrolled: 1-line block ×9, first 2 shown]
.long 0xD2850001, 0x00020290
.long 0x260ABCBF
.long 0x200A0A83
	;; [unrolled: 1-line block ×3, first 2 shown]
.long 0xD2850002, 0x00005501
.long 0xD2850003, 0x00005101
.long 0x260A0883
.long 0xD2850005, 0x00020AA0
.long 0x2600BC87
.long 0x24000082
.long 0x68000105
.long 0x923302FF, 0x00000080
.long 0x68000033
.long 0x92330390
	;; [unrolled: 1-line block ×3, first 2 shown]
.long 0xD1FE0006, 0x020A0103
.long 0xD1FE0007, 0x02060103
	;; [unrolled: 1-line block ×3, first 2 shown]
.long 0x68100D08
.long 0xE05CD000, 0x80111006
.long 0xE05CD000, 0x80111408
.long 0xBE850032
.long 0x81858105
	;; [unrolled: 1-line block ×6, first 2 shown]
.long 0xE05CD000, 0x80116006
.long 0xE05CD000, 0x80116408
.long 0x81858105
.long 0x80444044
.long 0x82454145
.long 0xBF008005
.long 0xBF850598
.long 0xE05CD000, 0x80116806
.long 0xE05CD000, 0x80116C08
.long 0x81858105
.long 0x80444044
.long 0x82454145
.long 0xBF008005
.long 0xBF85057C
	;; [unrolled: 7-line block ×14, first 2 shown]
.long 0xE05CD000, 0x8011D006
.long 0xE05CD000, 0x8011D408
.long 0xBF8C4F7C
.long 0xD3B24010, 0x1802C110
.long 0xD3B24012, 0x1802C512
.long 0xD3B24014, 0x1802C914
.long 0xD3B24016, 0x1802CD16
.long 0x81858105
.long 0xBF05CE05
.long 0xBF85051D
.long 0x80444044
.long 0x82454145
.long 0xD0C60042, 0x00000A80
.long 0xD100000A, 0x010A1306
.long 0xD100000B, 0x010A1308
.long 0xE05CD000, 0x8011600A
.long 0xE05CD000, 0x8011640B
.long 0xBF8C4F7C
.long 0xD3B24010, 0x1802D110
.long 0xD3B24012, 0x1802D512
.long 0xD3B24014, 0x1802D914
.long 0xD3B24016, 0x1802DD16
.long 0x81858105
.long 0xBF05CE05
.long 0xBF850505
.long 0x80444044
.long 0x82454145
.long 0xD0C60042, 0x00000A80
.long 0xD100000A, 0x010A1306
.long 0xD100000B, 0x010A1308
	;; [unrolled: 15-line block ×15, first 2 shown]
.long 0xE05CD000, 0x8011D00A
.long 0xE05CD000, 0x8011D40B
.long 0xBF02CE05
.long 0xBF85FE96
	;; [unrolled: 1-line block ×3, first 2 shown]
.long 0xD3B24010, 0x1802C110
.long 0xD3B24012, 0x1802C512
.long 0xD3B24014, 0x1802C914
.long 0xD3B24016, 0x1802CD16
.long 0xBF8C4F78
.long 0xD3B24010, 0x1802D110
.long 0xD3B24012, 0x1802D512
.long 0xD3B24014, 0x1802D914
.long 0xD3B24016, 0x1802DD16
.long 0xBF8C4F76
	;; [unrolled: 5-line block ×14, first 2 shown]
.long 0xBF8C4F78
.long 0xD3B24010, 0x1802C110
.long 0xD3B24012, 0x1802C512
.long 0xD3B24014, 0x1802C914
.long 0xD3B24016, 0x1802CD16
.long 0xBF8C4F76
.long 0xD3B24010, 0x1802D110
.long 0xD3B24012, 0x1802D512
.long 0xD3B24014, 0x1802D914
.long 0xD3B24016, 0x1802DD16
	;; [unrolled: 5-line block ×13, first 2 shown]
.long 0xBF8202CA
.long 0xBF8C4F76
.long 0xD3B24010, 0x1802C110
.long 0xD3B24012, 0x1802C512
.long 0xD3B24014, 0x1802C914
.long 0xD3B24016, 0x1802CD16
.long 0xBF8C4F74
.long 0xD3B24010, 0x1802D110
.long 0xD3B24012, 0x1802D512
.long 0xD3B24014, 0x1802D914
.long 0xD3B24016, 0x1802DD16
	;; [unrolled: 5-line block ×12, first 2 shown]
.long 0xBF82025D
.long 0xBF8C4F74
.long 0xD3B24010, 0x1802C110
.long 0xD3B24012, 0x1802C512
.long 0xD3B24014, 0x1802C914
.long 0xD3B24016, 0x1802CD16
.long 0xBF8C4F72
.long 0xD3B24010, 0x1802D110
.long 0xD3B24012, 0x1802D512
.long 0xD3B24014, 0x1802D914
.long 0xD3B24016, 0x1802DD16
	;; [unrolled: 5-line block ×11, first 2 shown]
.long 0xBF8201F9
.long 0xBF8C4F72
.long 0xD3B24010, 0x1802C110
.long 0xD3B24012, 0x1802C512
.long 0xD3B24014, 0x1802C914
.long 0xD3B24016, 0x1802CD16
.long 0xBF8C4F70
.long 0xD3B24010, 0x1802D110
.long 0xD3B24012, 0x1802D512
.long 0xD3B24014, 0x1802D914
.long 0xD3B24016, 0x1802DD16
	;; [unrolled: 5-line block ×10, first 2 shown]
.long 0xBF82019E
.long 0xBF8C4F70
.long 0xD3B24010, 0x1802C110
.long 0xD3B24012, 0x1802C512
.long 0xD3B24014, 0x1802C914
.long 0xD3B24016, 0x1802CD16
.long 0xBF8C0F7E
.long 0xD3B24010, 0x1802D110
.long 0xD3B24012, 0x1802D512
.long 0xD3B24014, 0x1802D914
.long 0xD3B24016, 0x1802DD16
	;; [unrolled: 5-line block ×9, first 2 shown]
.long 0xBF82014C
.long 0xBF8C0F7E
.long 0xD3B24010, 0x1802C110
.long 0xD3B24012, 0x1802C512
.long 0xD3B24014, 0x1802C914
.long 0xD3B24016, 0x1802CD16
.long 0xBF8C0F7C
.long 0xD3B24010, 0x1802D110
.long 0xD3B24012, 0x1802D512
.long 0xD3B24014, 0x1802D914
.long 0xD3B24016, 0x1802DD16
.long 0xBF8C0F7A
.long 0xD3B24010, 0x1802E110
.long 0xD3B24012, 0x1802E512
.long 0xD3B24014, 0x1802E914
.long 0xD3B24016, 0x1802ED16
.long 0xBF8C0F78
.long 0xD3B24010, 0x1802F110
.long 0xD3B24012, 0x1802F512
.long 0xD3B24014, 0x1802F914
.long 0xD3B24016, 0x1802FD16
.long 0xBF8C0F76
.long 0xD3B24010, 0x18030110
.long 0xD3B24012, 0x18030512
.long 0xD3B24014, 0x18030914
.long 0xD3B24016, 0x18030D16
.long 0xBF8C0F74
.long 0xD3B24010, 0x18031110
.long 0xD3B24012, 0x18031512
.long 0xD3B24014, 0x18031914
.long 0xD3B24016, 0x18031D16
.long 0xBF8C0F72
.long 0xD3B24010, 0x18032110
.long 0xD3B24012, 0x18032512
.long 0xD3B24014, 0x18032914
.long 0xD3B24016, 0x18032D16
.long 0xBF8C0F70
.long 0xD3B24010, 0x18033110
.long 0xD3B24012, 0x18033512
.long 0xD3B24014, 0x18033914
.long 0xD3B24016, 0x18033D16
.long 0xBF820103
.long 0xBF8C0F7C
.long 0xD3B24010, 0x1802C110
.long 0xD3B24012, 0x1802C512
.long 0xD3B24014, 0x1802C914
.long 0xD3B24016, 0x1802CD16
.long 0xBF8C0F7A
.long 0xD3B24010, 0x1802D110
.long 0xD3B24012, 0x1802D512
.long 0xD3B24014, 0x1802D914
.long 0xD3B24016, 0x1802DD16
	;; [unrolled: 5-line block ×7, first 2 shown]
.long 0xBF8200C3
.long 0xBF8C0F7A
.long 0xD3B24010, 0x1802C110
.long 0xD3B24012, 0x1802C512
.long 0xD3B24014, 0x1802C914
.long 0xD3B24016, 0x1802CD16
.long 0xBF8C0F78
.long 0xD3B24010, 0x1802D110
.long 0xD3B24012, 0x1802D512
.long 0xD3B24014, 0x1802D914
.long 0xD3B24016, 0x1802DD16
	;; [unrolled: 5-line block ×6, first 2 shown]
.long 0xBF82008C
.long 0xBF8C0F78
.long 0xD3B24010, 0x1802C110
.long 0xD3B24012, 0x1802C512
.long 0xD3B24014, 0x1802C914
.long 0xD3B24016, 0x1802CD16
.long 0xBF8C0F76
.long 0xD3B24010, 0x1802D110
.long 0xD3B24012, 0x1802D512
.long 0xD3B24014, 0x1802D914
.long 0xD3B24016, 0x1802DD16
	;; [unrolled: 5-line block ×5, first 2 shown]
.long 0xBF82005E
.long 0xBF8C0F76
.long 0xD3B24010, 0x1802C110
.long 0xD3B24012, 0x1802C512
.long 0xD3B24014, 0x1802C914
.long 0xD3B24016, 0x1802CD16
.long 0xBF8C0F74
.long 0xD3B24010, 0x1802D110
.long 0xD3B24012, 0x1802D512
.long 0xD3B24014, 0x1802D914
.long 0xD3B24016, 0x1802DD16
	;; [unrolled: 5-line block ×4, first 2 shown]
.long 0xBF820039
.long 0xBF8C0F74
.long 0xD3B24010, 0x1802C110
.long 0xD3B24012, 0x1802C512
.long 0xD3B24014, 0x1802C914
.long 0xD3B24016, 0x1802CD16
.long 0xBF8C0F72
.long 0xD3B24010, 0x1802D110
.long 0xD3B24012, 0x1802D512
.long 0xD3B24014, 0x1802D914
.long 0xD3B24016, 0x1802DD16
	;; [unrolled: 5-line block ×3, first 2 shown]
.long 0xBF82001D
.long 0xBF8C0F72
.long 0xD3B24010, 0x1802C110
.long 0xD3B24012, 0x1802C512
	;; [unrolled: 1-line block ×4, first 2 shown]
.long 0xBF8C0F70
.long 0xD3B24010, 0x1802D110
.long 0xD3B24012, 0x1802D512
	;; [unrolled: 1-line block ×4, first 2 shown]
.long 0xBF82000A
.long 0xBF8C0F70
.long 0xD3B24010, 0x1802C110
.long 0xD3B24012, 0x1802C512
	;; [unrolled: 1-line block ×4, first 2 shown]
.long 0xBF820000
.long 0x0A202030
	;; [unrolled: 1-line block ×11, first 2 shown]
.long 0xD2A00010, 0x00022310
.long 0x7E241512
.long 0x7E261513
.long 0xD2A00011, 0x00022712
.long 0xE074D000, 0x800E1007
	;; [unrolled: 1-line block ×3, first 2 shown]
.long 0x680E0F08
.long 0x7E281514
.long 0x7E2A1515
.long 0xD2A00012, 0x00022B14
.long 0x7E2C1516
.long 0x7E2E1517
.long 0xD2A00013, 0x00022F16
.long 0xE074D000, 0x800E1207
.long 0xBF800000
.long 0xBF800000
	;; [unrolled: 1-line block ×3, first 2 shown]
.long 0x7E2002FF, 0x80000000
.long 0xD0C9003C, 0x00003900
	;; [unrolled: 1-line block ×3, first 2 shown]
.long 0x86C0403C
.long 0xD1FE0006, 0x020A0103
.long 0xD1000006, 0x01020D10
.long 0xD1FE0007, 0x02060103
.long 0xD1000007, 0x01020F10
.long 0xD3D84008, 0x18000100
.long 0xD3D84009, 0x18000104
.long 0xD3D8400A, 0x18000101
.long 0xD3D8400B, 0x18000105
.long 0xD3D8400C, 0x18000102
.long 0xD3D8400D, 0x18000106
.long 0xD3D8400E, 0x18000103
.long 0xD3D8400F, 0x18000107
.long 0xBF800001
.long 0xE07CD000, 0x80030806
.long 0xE07CD010, 0x80030C06
.long 0xBF800000
.long 0x92431415
	;; [unrolled: 1-line block ×16, first 2 shown]
.long 0xC2330CCC, 0x00000000
.long 0x9649811C
.long 0x9248811C
	;; [unrolled: 1-line block ×15, first 2 shown]
.long 0x7E2002FF, 0x80000000
.long 0xBEC80016
.long 0xBEC90017
	;; [unrolled: 1-line block ×7, first 2 shown]
.long 0xE05CD000, 0x80120806
.long 0xE05CD010, 0x80120C06
.long 0xBE850032
.long 0x81858105
.long 0x80484448
.long 0x82494549
.long 0xBF008005
.long 0xBF85058D
.long 0xE05CD000, 0x80126006
.long 0xE05CD010, 0x80126406
.long 0x81858105
.long 0x80484448
.long 0x82494549
.long 0xBF008005
.long 0xBF85057A
.long 0xE05CD000, 0x80126806
.long 0xE05CD010, 0x80126C06
.long 0x81858105
.long 0x80484448
.long 0x82494549
.long 0xBF008005
.long 0xBF85055E
	;; [unrolled: 7-line block ×14, first 2 shown]
.long 0xE05CD000, 0x8012D006
.long 0xE05CD010, 0x8012D406
.long 0xBF8C0F7E
.long 0xD3B24008, 0x1802C108
.long 0xD3B2400A, 0x1802C50A
.long 0xD3B2400C, 0x1802C90C
.long 0xD3B2400E, 0x1802CD0E
.long 0x81858105
.long 0xBF05CE05
.long 0xBF8504FF
.long 0x80484448
.long 0x82494549
.long 0xD0C60046, 0x00000A80
.long 0xD1000011, 0x011A2106
.long 0xE05CD000, 0x80126011
.long 0xE05CD010, 0x80126411
.long 0xBF8C0F7E
.long 0xD3B24008, 0x1802D108
.long 0xD3B2400A, 0x1802D50A
.long 0xD3B2400C, 0x1802D90C
.long 0xD3B2400E, 0x1802DD0E
.long 0x81858105
.long 0xBF05CE05
.long 0xBF8504E9
.long 0x80484448
.long 0x82494549
.long 0xD0C60046, 0x00000A80
.long 0xD1000011, 0x011A2106
	;; [unrolled: 14-line block ×15, first 2 shown]
.long 0xE05CD000, 0x8012D011
.long 0xE05CD010, 0x8012D411
.long 0xBF02CE05
.long 0xBF85FEB4
	;; [unrolled: 1-line block ×3, first 2 shown]
.long 0xD3B24008, 0x1802C108
.long 0xD3B2400A, 0x1802C50A
.long 0xD3B2400C, 0x1802C90C
.long 0xD3B2400E, 0x1802CD0E
.long 0xBF8C0F7C
.long 0xD3B24008, 0x1802D108
.long 0xD3B2400A, 0x1802D50A
.long 0xD3B2400C, 0x1802D90C
.long 0xD3B2400E, 0x1802DD0E
.long 0xBF8C0F7B
	;; [unrolled: 5-line block ×14, first 2 shown]
.long 0xBF8C0F7C
.long 0xD3B24008, 0x1802C108
.long 0xD3B2400A, 0x1802C50A
.long 0xD3B2400C, 0x1802C90C
.long 0xD3B2400E, 0x1802CD0E
.long 0xBF8C0F7B
.long 0xD3B24008, 0x1802D108
.long 0xD3B2400A, 0x1802D50A
.long 0xD3B2400C, 0x1802D90C
.long 0xD3B2400E, 0x1802DD0E
	;; [unrolled: 5-line block ×13, first 2 shown]
.long 0xBF8202CA
.long 0xBF8C0F7B
.long 0xD3B24008, 0x1802C108
.long 0xD3B2400A, 0x1802C50A
.long 0xD3B2400C, 0x1802C90C
.long 0xD3B2400E, 0x1802CD0E
.long 0xBF8C0F7A
.long 0xD3B24008, 0x1802D108
.long 0xD3B2400A, 0x1802D50A
.long 0xD3B2400C, 0x1802D90C
.long 0xD3B2400E, 0x1802DD0E
	;; [unrolled: 5-line block ×12, first 2 shown]
.long 0xBF82025D
.long 0xBF8C0F7A
.long 0xD3B24008, 0x1802C108
.long 0xD3B2400A, 0x1802C50A
.long 0xD3B2400C, 0x1802C90C
.long 0xD3B2400E, 0x1802CD0E
.long 0xBF8C0F79
.long 0xD3B24008, 0x1802D108
.long 0xD3B2400A, 0x1802D50A
.long 0xD3B2400C, 0x1802D90C
.long 0xD3B2400E, 0x1802DD0E
	;; [unrolled: 5-line block ×11, first 2 shown]
.long 0xBF8201F9
.long 0xBF8C0F79
.long 0xD3B24008, 0x1802C108
.long 0xD3B2400A, 0x1802C50A
.long 0xD3B2400C, 0x1802C90C
.long 0xD3B2400E, 0x1802CD0E
.long 0xBF8C0F78
.long 0xD3B24008, 0x1802D108
.long 0xD3B2400A, 0x1802D50A
.long 0xD3B2400C, 0x1802D90C
.long 0xD3B2400E, 0x1802DD0E
	;; [unrolled: 5-line block ×10, first 2 shown]
.long 0xBF82019E
.long 0xBF8C0F78
.long 0xD3B24008, 0x1802C108
.long 0xD3B2400A, 0x1802C50A
.long 0xD3B2400C, 0x1802C90C
.long 0xD3B2400E, 0x1802CD0E
.long 0xBF8C0F77
.long 0xD3B24008, 0x1802D108
.long 0xD3B2400A, 0x1802D50A
.long 0xD3B2400C, 0x1802D90C
.long 0xD3B2400E, 0x1802DD0E
.long 0xBF8C0F76
.long 0xD3B24008, 0x1802E108
.long 0xD3B2400A, 0x1802E50A
.long 0xD3B2400C, 0x1802E90C
.long 0xD3B2400E, 0x1802ED0E
.long 0xBF8C0F75
.long 0xD3B24008, 0x1802F108
.long 0xD3B2400A, 0x1802F50A
.long 0xD3B2400C, 0x1802F90C
.long 0xD3B2400E, 0x1802FD0E
.long 0xBF8C0F74
.long 0xD3B24008, 0x18030108
.long 0xD3B2400A, 0x1803050A
.long 0xD3B2400C, 0x1803090C
.long 0xD3B2400E, 0x18030D0E
.long 0xBF8C0F73
.long 0xD3B24008, 0x18031108
.long 0xD3B2400A, 0x1803150A
.long 0xD3B2400C, 0x1803190C
.long 0xD3B2400E, 0x18031D0E
.long 0xBF8C0F72
.long 0xD3B24008, 0x18032108
.long 0xD3B2400A, 0x1803250A
.long 0xD3B2400C, 0x1803290C
.long 0xD3B2400E, 0x18032D0E
.long 0xBF8C0F71
.long 0xD3B24008, 0x18033108
.long 0xD3B2400A, 0x1803350A
.long 0xD3B2400C, 0x1803390C
.long 0xD3B2400E, 0x18033D0E
.long 0xBF8C0F70
.long 0xD3B24008, 0x18034108
.long 0xD3B2400A, 0x1803450A
.long 0xD3B2400C, 0x1803490C
.long 0xD3B2400E, 0x18034D0E
.long 0xBF82014C
.long 0xBF8C0F77
.long 0xD3B24008, 0x1802C108
.long 0xD3B2400A, 0x1802C50A
.long 0xD3B2400C, 0x1802C90C
.long 0xD3B2400E, 0x1802CD0E
.long 0xBF8C0F76
.long 0xD3B24008, 0x1802D108
.long 0xD3B2400A, 0x1802D50A
.long 0xD3B2400C, 0x1802D90C
.long 0xD3B2400E, 0x1802DD0E
	;; [unrolled: 5-line block ×8, first 2 shown]
.long 0xBF820103
.long 0xBF8C0F76
.long 0xD3B24008, 0x1802C108
.long 0xD3B2400A, 0x1802C50A
.long 0xD3B2400C, 0x1802C90C
.long 0xD3B2400E, 0x1802CD0E
.long 0xBF8C0F75
.long 0xD3B24008, 0x1802D108
.long 0xD3B2400A, 0x1802D50A
.long 0xD3B2400C, 0x1802D90C
.long 0xD3B2400E, 0x1802DD0E
	;; [unrolled: 5-line block ×7, first 2 shown]
.long 0xBF8200C3
.long 0xBF8C0F75
.long 0xD3B24008, 0x1802C108
.long 0xD3B2400A, 0x1802C50A
.long 0xD3B2400C, 0x1802C90C
.long 0xD3B2400E, 0x1802CD0E
.long 0xBF8C0F74
.long 0xD3B24008, 0x1802D108
.long 0xD3B2400A, 0x1802D50A
.long 0xD3B2400C, 0x1802D90C
.long 0xD3B2400E, 0x1802DD0E
	;; [unrolled: 5-line block ×6, first 2 shown]
.long 0xBF82008C
.long 0xBF8C0F74
.long 0xD3B24008, 0x1802C108
.long 0xD3B2400A, 0x1802C50A
.long 0xD3B2400C, 0x1802C90C
.long 0xD3B2400E, 0x1802CD0E
.long 0xBF8C0F73
.long 0xD3B24008, 0x1802D108
.long 0xD3B2400A, 0x1802D50A
.long 0xD3B2400C, 0x1802D90C
.long 0xD3B2400E, 0x1802DD0E
	;; [unrolled: 5-line block ×5, first 2 shown]
.long 0xBF82005E
.long 0xBF8C0F73
.long 0xD3B24008, 0x1802C108
.long 0xD3B2400A, 0x1802C50A
.long 0xD3B2400C, 0x1802C90C
.long 0xD3B2400E, 0x1802CD0E
.long 0xBF8C0F72
.long 0xD3B24008, 0x1802D108
.long 0xD3B2400A, 0x1802D50A
.long 0xD3B2400C, 0x1802D90C
.long 0xD3B2400E, 0x1802DD0E
	;; [unrolled: 5-line block ×4, first 2 shown]
.long 0xBF820039
.long 0xBF8C0F72
.long 0xD3B24008, 0x1802C108
.long 0xD3B2400A, 0x1802C50A
.long 0xD3B2400C, 0x1802C90C
.long 0xD3B2400E, 0x1802CD0E
.long 0xBF8C0F71
.long 0xD3B24008, 0x1802D108
.long 0xD3B2400A, 0x1802D50A
.long 0xD3B2400C, 0x1802D90C
.long 0xD3B2400E, 0x1802DD0E
	;; [unrolled: 5-line block ×3, first 2 shown]
.long 0xBF82001D
.long 0xBF8C0F71
.long 0xD3B24008, 0x1802C108
.long 0xD3B2400A, 0x1802C50A
	;; [unrolled: 1-line block ×4, first 2 shown]
.long 0xBF8C0F70
.long 0xD3B24008, 0x1802D108
.long 0xD3B2400A, 0x1802D50A
	;; [unrolled: 1-line block ×4, first 2 shown]
.long 0xBF82000A
.long 0xBF8C0F70
.long 0xD3B24008, 0x1802C108
.long 0xD3B2400A, 0x1802C50A
	;; [unrolled: 1-line block ×4, first 2 shown]
.long 0xBF820000
.long 0x0A101030
	;; [unrolled: 1-line block ×11, first 2 shown]
.long 0xD2A00008, 0x00021308
.long 0x7E14150A
.long 0x7E16150B
.long 0xD2A00009, 0x0002170A
.long 0x7E18150C
.long 0x7E1A150D
	;; [unrolled: 3-line block ×3, first 2 shown]
.long 0xD2A0000B, 0x00021F0E
.long 0xE07CD000, 0x800E0807
.long 0xBF800000
.long 0xBF800000
	;; [unrolled: 1-line block ×3, first 2 shown]
.long 0x863C1CFF, 0x0000007F
.long 0x803D14C1
.long 0xBF093D02
.long 0x853C803C
.long 0xB53C0000
.long 0xBF850611
.long 0x863C1D8F
.long 0x803D15C1
.long 0xBF093D03
.long 0x853C803C
.long 0xB53C0000
.long 0xBF85060B
.long 0xD1FE0008, 0x02060102
.long 0xE05C1000, 0x80041008
	;; [unrolled: 1-line block ×12, first 2 shown]
.long 0xBF800001
.long 0xE07CD000, 0x80031806
.long 0xE07CD010, 0x80031C06
.long 0xBF800000
.long 0x923F1415
	;; [unrolled: 1-line block ×16, first 2 shown]
.long 0xC2330CCC, 0x00000000
.long 0x9645811C
.long 0x9244811C
	;; [unrolled: 1-line block ×15, first 2 shown]
.long 0x7E1202FF, 0x80000000
.long 0xBEC40016
.long 0xBEC50017
	;; [unrolled: 1-line block ×7, first 2 shown]
.long 0xE05CD000, 0x80111806
.long 0xE05CD010, 0x80111C06
.long 0xBE850032
.long 0x81858105
	;; [unrolled: 1-line block ×6, first 2 shown]
.long 0xE05CD000, 0x80116006
.long 0xE05CD010, 0x80116406
.long 0x81858105
.long 0x80444044
.long 0x82454145
.long 0xBF008005
.long 0xBF85057A
.long 0xE05CD000, 0x80116806
.long 0xE05CD010, 0x80116C06
.long 0x81858105
.long 0x80444044
.long 0x82454145
.long 0xBF008005
.long 0xBF85055E
.long 0xE05CD000, 0x80117006
.long 0xE05CD010, 0x80117406
.long 0x81858105
.long 0x80444044
.long 0x82454145
.long 0xBF008005
.long 0xBF850539
.long 0xE05CD000, 0x80117806
.long 0xE05CD010, 0x80117C06
.long 0x81858105
.long 0x80444044
.long 0x82454145
.long 0xBF008005
.long 0xBF85050B
.long 0xE05CD000, 0x80118006
.long 0xE05CD010, 0x80118406
.long 0x81858105
.long 0x80444044
.long 0x82454145
.long 0xBF008005
.long 0xBF8504D4
.long 0xE05CD000, 0x80118806
.long 0xE05CD010, 0x80118C06
.long 0x81858105
.long 0x80444044
.long 0x82454145
.long 0xBF008005
.long 0xBF850494
.long 0xE05CD000, 0x80119006
.long 0xE05CD010, 0x80119406
.long 0x81858105
.long 0x80444044
.long 0x82454145
.long 0xBF008005
.long 0xBF85044B
.long 0xE05CD000, 0x80119806
.long 0xE05CD010, 0x80119C06
.long 0x81858105
.long 0x80444044
.long 0x82454145
.long 0xBF008005
.long 0xBF8503F9
.long 0xE05CD000, 0x8011A006
.long 0xE05CD010, 0x8011A406
.long 0x81858105
.long 0x80444044
.long 0x82454145
.long 0xBF008005
.long 0xBF85039E
.long 0xE05CD000, 0x8011A806
.long 0xE05CD010, 0x8011AC06
.long 0x81858105
.long 0x80444044
.long 0x82454145
.long 0xBF008005
.long 0xBF85033A
.long 0xE05CD000, 0x8011B006
.long 0xE05CD010, 0x8011B406
.long 0x81858105
.long 0x80444044
.long 0x82454145
.long 0xBF008005
.long 0xBF8502CD
.long 0xE05CD000, 0x8011B806
.long 0xE05CD010, 0x8011BC06
.long 0x81858105
.long 0x80444044
.long 0x82454145
.long 0xBF008005
.long 0xBF850257
.long 0xE05CD000, 0x8011C006
.long 0xE05CD010, 0x8011C406
.long 0x81858105
.long 0x80444044
.long 0x82454145
.long 0xBF008005
.long 0xBF8501D8
.long 0xE05CD000, 0x8011C806
.long 0xE05CD010, 0x8011CC06
.long 0x81858105
.long 0x80444044
.long 0x82454145
.long 0xBF008005
.long 0xBF850150
.long 0xE05CD000, 0x8011D006
.long 0xE05CD010, 0x8011D406
.long 0xBF8C0F7E
.long 0xD3B24018, 0x1802C118
.long 0xD3B2401A, 0x1802C51A
.long 0xD3B2401C, 0x1802C91C
.long 0xD3B2401E, 0x1802CD1E
.long 0x81858105
.long 0xBF05CE05
.long 0xBF8504FF
.long 0x80444044
.long 0x82454145
.long 0xD0C60042, 0x00000A80
.long 0xD100000A, 0x010A1306
.long 0xE05CD000, 0x8011600A
.long 0xE05CD010, 0x8011640A
.long 0xBF8C0F7E
.long 0xD3B24018, 0x1802D118
.long 0xD3B2401A, 0x1802D51A
.long 0xD3B2401C, 0x1802D91C
.long 0xD3B2401E, 0x1802DD1E
.long 0x81858105
.long 0xBF05CE05
.long 0xBF8504E9
.long 0x80444044
.long 0x82454145
.long 0xD0C60042, 0x00000A80
.long 0xD100000A, 0x010A1306
	;; [unrolled: 14-line block ×15, first 2 shown]
.long 0xE05CD000, 0x8011D00A
.long 0xE05CD010, 0x8011D40A
.long 0xBF02CE05
.long 0xBF85FEB4
.long 0xBF8C0F7D
.long 0xD3B24018, 0x1802C118
.long 0xD3B2401A, 0x1802C51A
.long 0xD3B2401C, 0x1802C91C
.long 0xD3B2401E, 0x1802CD1E
.long 0xBF8C0F7C
.long 0xD3B24018, 0x1802D118
.long 0xD3B2401A, 0x1802D51A
.long 0xD3B2401C, 0x1802D91C
.long 0xD3B2401E, 0x1802DD1E
.long 0xBF8C0F7B
	;; [unrolled: 5-line block ×14, first 2 shown]
.long 0xBF8C0F7C
.long 0xD3B24018, 0x1802C118
.long 0xD3B2401A, 0x1802C51A
.long 0xD3B2401C, 0x1802C91C
.long 0xD3B2401E, 0x1802CD1E
.long 0xBF8C0F7B
.long 0xD3B24018, 0x1802D118
.long 0xD3B2401A, 0x1802D51A
.long 0xD3B2401C, 0x1802D91C
.long 0xD3B2401E, 0x1802DD1E
	;; [unrolled: 5-line block ×13, first 2 shown]
.long 0xBF8202CA
.long 0xBF8C0F7B
.long 0xD3B24018, 0x1802C118
.long 0xD3B2401A, 0x1802C51A
.long 0xD3B2401C, 0x1802C91C
.long 0xD3B2401E, 0x1802CD1E
.long 0xBF8C0F7A
.long 0xD3B24018, 0x1802D118
.long 0xD3B2401A, 0x1802D51A
.long 0xD3B2401C, 0x1802D91C
.long 0xD3B2401E, 0x1802DD1E
	;; [unrolled: 5-line block ×12, first 2 shown]
.long 0xBF82025D
.long 0xBF8C0F7A
.long 0xD3B24018, 0x1802C118
.long 0xD3B2401A, 0x1802C51A
.long 0xD3B2401C, 0x1802C91C
.long 0xD3B2401E, 0x1802CD1E
.long 0xBF8C0F79
.long 0xD3B24018, 0x1802D118
.long 0xD3B2401A, 0x1802D51A
.long 0xD3B2401C, 0x1802D91C
.long 0xD3B2401E, 0x1802DD1E
	;; [unrolled: 5-line block ×11, first 2 shown]
.long 0xBF8201F9
.long 0xBF8C0F79
.long 0xD3B24018, 0x1802C118
.long 0xD3B2401A, 0x1802C51A
.long 0xD3B2401C, 0x1802C91C
.long 0xD3B2401E, 0x1802CD1E
.long 0xBF8C0F78
.long 0xD3B24018, 0x1802D118
.long 0xD3B2401A, 0x1802D51A
.long 0xD3B2401C, 0x1802D91C
.long 0xD3B2401E, 0x1802DD1E
.long 0xBF8C0F77
.long 0xD3B24018, 0x1802E118
.long 0xD3B2401A, 0x1802E51A
.long 0xD3B2401C, 0x1802E91C
.long 0xD3B2401E, 0x1802ED1E
.long 0xBF8C0F76
.long 0xD3B24018, 0x1802F118
.long 0xD3B2401A, 0x1802F51A
.long 0xD3B2401C, 0x1802F91C
.long 0xD3B2401E, 0x1802FD1E
.long 0xBF8C0F75
.long 0xD3B24018, 0x18030118
.long 0xD3B2401A, 0x1803051A
.long 0xD3B2401C, 0x1803091C
.long 0xD3B2401E, 0x18030D1E
.long 0xBF8C0F74
.long 0xD3B24018, 0x18031118
.long 0xD3B2401A, 0x1803151A
.long 0xD3B2401C, 0x1803191C
.long 0xD3B2401E, 0x18031D1E
.long 0xBF8C0F73
.long 0xD3B24018, 0x18032118
.long 0xD3B2401A, 0x1803251A
.long 0xD3B2401C, 0x1803291C
.long 0xD3B2401E, 0x18032D1E
.long 0xBF8C0F72
.long 0xD3B24018, 0x18033118
.long 0xD3B2401A, 0x1803351A
.long 0xD3B2401C, 0x1803391C
.long 0xD3B2401E, 0x18033D1E
.long 0xBF8C0F71
.long 0xD3B24018, 0x18034118
.long 0xD3B2401A, 0x1803451A
.long 0xD3B2401C, 0x1803491C
.long 0xD3B2401E, 0x18034D1E
.long 0xBF8C0F70
.long 0xD3B24018, 0x18035118
.long 0xD3B2401A, 0x1803551A
.long 0xD3B2401C, 0x1803591C
.long 0xD3B2401E, 0x18035D1E
.long 0xBF82019E
.long 0xBF8C0F78
.long 0xD3B24018, 0x1802C118
.long 0xD3B2401A, 0x1802C51A
.long 0xD3B2401C, 0x1802C91C
.long 0xD3B2401E, 0x1802CD1E
.long 0xBF8C0F77
.long 0xD3B24018, 0x1802D118
.long 0xD3B2401A, 0x1802D51A
.long 0xD3B2401C, 0x1802D91C
.long 0xD3B2401E, 0x1802DD1E
	;; [unrolled: 5-line block ×9, first 2 shown]
.long 0xBF82014C
.long 0xBF8C0F77
.long 0xD3B24018, 0x1802C118
.long 0xD3B2401A, 0x1802C51A
.long 0xD3B2401C, 0x1802C91C
.long 0xD3B2401E, 0x1802CD1E
.long 0xBF8C0F76
.long 0xD3B24018, 0x1802D118
.long 0xD3B2401A, 0x1802D51A
.long 0xD3B2401C, 0x1802D91C
.long 0xD3B2401E, 0x1802DD1E
	;; [unrolled: 5-line block ×8, first 2 shown]
.long 0xBF820103
.long 0xBF8C0F76
.long 0xD3B24018, 0x1802C118
.long 0xD3B2401A, 0x1802C51A
.long 0xD3B2401C, 0x1802C91C
.long 0xD3B2401E, 0x1802CD1E
.long 0xBF8C0F75
.long 0xD3B24018, 0x1802D118
.long 0xD3B2401A, 0x1802D51A
.long 0xD3B2401C, 0x1802D91C
.long 0xD3B2401E, 0x1802DD1E
	;; [unrolled: 5-line block ×7, first 2 shown]
.long 0xBF8200C3
.long 0xBF8C0F75
.long 0xD3B24018, 0x1802C118
.long 0xD3B2401A, 0x1802C51A
.long 0xD3B2401C, 0x1802C91C
.long 0xD3B2401E, 0x1802CD1E
.long 0xBF8C0F74
.long 0xD3B24018, 0x1802D118
.long 0xD3B2401A, 0x1802D51A
.long 0xD3B2401C, 0x1802D91C
.long 0xD3B2401E, 0x1802DD1E
	;; [unrolled: 5-line block ×6, first 2 shown]
.long 0xBF82008C
.long 0xBF8C0F74
.long 0xD3B24018, 0x1802C118
.long 0xD3B2401A, 0x1802C51A
.long 0xD3B2401C, 0x1802C91C
.long 0xD3B2401E, 0x1802CD1E
.long 0xBF8C0F73
.long 0xD3B24018, 0x1802D118
.long 0xD3B2401A, 0x1802D51A
.long 0xD3B2401C, 0x1802D91C
.long 0xD3B2401E, 0x1802DD1E
	;; [unrolled: 5-line block ×5, first 2 shown]
.long 0xBF82005E
.long 0xBF8C0F73
.long 0xD3B24018, 0x1802C118
.long 0xD3B2401A, 0x1802C51A
.long 0xD3B2401C, 0x1802C91C
.long 0xD3B2401E, 0x1802CD1E
.long 0xBF8C0F72
.long 0xD3B24018, 0x1802D118
.long 0xD3B2401A, 0x1802D51A
.long 0xD3B2401C, 0x1802D91C
.long 0xD3B2401E, 0x1802DD1E
	;; [unrolled: 5-line block ×4, first 2 shown]
.long 0xBF820039
.long 0xBF8C0F72
.long 0xD3B24018, 0x1802C118
.long 0xD3B2401A, 0x1802C51A
.long 0xD3B2401C, 0x1802C91C
.long 0xD3B2401E, 0x1802CD1E
.long 0xBF8C0F71
.long 0xD3B24018, 0x1802D118
.long 0xD3B2401A, 0x1802D51A
.long 0xD3B2401C, 0x1802D91C
.long 0xD3B2401E, 0x1802DD1E
	;; [unrolled: 5-line block ×3, first 2 shown]
.long 0xBF82001D
.long 0xBF8C0F71
.long 0xD3B24018, 0x1802C118
.long 0xD3B2401A, 0x1802C51A
.long 0xD3B2401C, 0x1802C91C
.long 0xD3B2401E, 0x1802CD1E
.long 0xBF8C0F70
.long 0xD3B24018, 0x1802D118
.long 0xD3B2401A, 0x1802D51A
	;; [unrolled: 1-line block ×4, first 2 shown]
.long 0xBF82000A
.long 0xBF8C0F70
.long 0xD3B24018, 0x1802C118
.long 0xD3B2401A, 0x1802C51A
	;; [unrolled: 1-line block ×4, first 2 shown]
.long 0xBF820000
.long 0x0A303030
	;; [unrolled: 1-line block ×9, first 2 shown]
.long 0xD3A00018, 0x14622031
.long 0xD3A01019, 0x14662031
	;; [unrolled: 1-line block ×8, first 2 shown]
.long 0x7E301518
.long 0x7E321519
.long 0xD2A00018, 0x00023318
.long 0x7E34151A
.long 0x7E36151B
.long 0xD2A00019, 0x0002371A
	;; [unrolled: 3-line block ×4, first 2 shown]
.long 0xE07CD000, 0x800E1807
.long 0xBF800000
.long 0xBF800000
	;; [unrolled: 1-line block ×3, first 2 shown]
.long 0x7E3002FF, 0x80000000
.long 0xD0C9003C, 0x00003900
	;; [unrolled: 1-line block ×3, first 2 shown]
.long 0x86C0403C
.long 0xD1FE0006, 0x02060102
.long 0xD1000006, 0x01020D18
	;; [unrolled: 1-line block ×15, first 2 shown]
.long 0xBF800001
.long 0xE07CD000, 0x80031006
.long 0xE07CD010, 0x80031406
.long 0xBF800000
.long 0x92431415
	;; [unrolled: 1-line block ×16, first 2 shown]
.long 0xC2330CCC, 0x00000000
.long 0x9649811C
.long 0x9248811C
	;; [unrolled: 1-line block ×15, first 2 shown]
.long 0x7E3002FF, 0x80000000
.long 0xBEC80016
.long 0xBEC90017
	;; [unrolled: 1-line block ×7, first 2 shown]
.long 0xE05CD000, 0x80121006
.long 0xE05CD010, 0x80121406
.long 0xBE850032
.long 0x81858105
	;; [unrolled: 1-line block ×6, first 2 shown]
.long 0xE05CD000, 0x80126006
.long 0xE05CD010, 0x80126406
.long 0x81858105
.long 0x80484448
.long 0x82494549
.long 0xBF008005
.long 0xBF85057A
.long 0xE05CD000, 0x80126806
.long 0xE05CD010, 0x80126C06
.long 0x81858105
.long 0x80484448
.long 0x82494549
.long 0xBF008005
.long 0xBF85055E
	;; [unrolled: 7-line block ×14, first 2 shown]
.long 0xE05CD000, 0x8012D006
.long 0xE05CD010, 0x8012D406
.long 0xBF8C0F7E
.long 0xD3B24010, 0x1802C110
.long 0xD3B24012, 0x1802C512
.long 0xD3B24014, 0x1802C914
.long 0xD3B24016, 0x1802CD16
.long 0x81858105
.long 0xBF05CE05
.long 0xBF8504FF
.long 0x80484448
.long 0x82494549
.long 0xD0C60046, 0x00000A80
.long 0xD1000019, 0x011A3106
.long 0xE05CD000, 0x80126019
.long 0xE05CD010, 0x80126419
.long 0xBF8C0F7E
.long 0xD3B24010, 0x1802D110
.long 0xD3B24012, 0x1802D512
.long 0xD3B24014, 0x1802D914
.long 0xD3B24016, 0x1802DD16
.long 0x81858105
.long 0xBF05CE05
.long 0xBF8504E9
.long 0x80484448
.long 0x82494549
.long 0xD0C60046, 0x00000A80
.long 0xD1000019, 0x011A3106
.long 0xE05CD000, 0x80126819
.long 0xE05CD010, 0x80126C19
.long 0xBF8C0F7E
.long 0xD3B24010, 0x1802E110
.long 0xD3B24012, 0x1802E512
.long 0xD3B24014, 0x1802E914
.long 0xD3B24016, 0x1802ED16
.long 0x81858105
.long 0xBF05CE05
.long 0xBF8504D3
.long 0x80484448
.long 0x82494549
.long 0xD0C60046, 0x00000A80
.long 0xD1000019, 0x011A3106
.long 0xE05CD000, 0x80127019
.long 0xE05CD010, 0x80127419
.long 0xBF8C0F7E
.long 0xD3B24010, 0x1802F110
.long 0xD3B24012, 0x1802F512
.long 0xD3B24014, 0x1802F914
.long 0xD3B24016, 0x1802FD16
.long 0x81858105
.long 0xBF05CE05
.long 0xBF8504BD
.long 0x80484448
.long 0x82494549
.long 0xD0C60046, 0x00000A80
.long 0xD1000019, 0x011A3106
.long 0xE05CD000, 0x80127819
.long 0xE05CD010, 0x80127C19
.long 0xBF8C0F7E
.long 0xD3B24010, 0x18030110
.long 0xD3B24012, 0x18030512
.long 0xD3B24014, 0x18030914
.long 0xD3B24016, 0x18030D16
.long 0x81858105
.long 0xBF05CE05
.long 0xBF8504A7
.long 0x80484448
.long 0x82494549
.long 0xD0C60046, 0x00000A80
.long 0xD1000019, 0x011A3106
.long 0xE05CD000, 0x80128019
.long 0xE05CD010, 0x80128419
.long 0xBF8C0F7E
.long 0xD3B24010, 0x18031110
.long 0xD3B24012, 0x18031512
.long 0xD3B24014, 0x18031914
.long 0xD3B24016, 0x18031D16
.long 0x81858105
.long 0xBF05CE05
.long 0xBF850491
.long 0x80484448
.long 0x82494549
.long 0xD0C60046, 0x00000A80
.long 0xD1000019, 0x011A3106
.long 0xE05CD000, 0x80128819
.long 0xE05CD010, 0x80128C19
.long 0xBF8C0F7E
.long 0xD3B24010, 0x18032110
.long 0xD3B24012, 0x18032512
.long 0xD3B24014, 0x18032914
.long 0xD3B24016, 0x18032D16
.long 0x81858105
.long 0xBF05CE05
.long 0xBF85047B
.long 0x80484448
.long 0x82494549
.long 0xD0C60046, 0x00000A80
.long 0xD1000019, 0x011A3106
.long 0xE05CD000, 0x80129019
.long 0xE05CD010, 0x80129419
.long 0xBF8C0F7E
.long 0xD3B24010, 0x18033110
.long 0xD3B24012, 0x18033512
.long 0xD3B24014, 0x18033914
.long 0xD3B24016, 0x18033D16
.long 0x81858105
.long 0xBF05CE05
.long 0xBF850465
.long 0x80484448
.long 0x82494549
.long 0xD0C60046, 0x00000A80
.long 0xD1000019, 0x011A3106
.long 0xE05CD000, 0x80129819
.long 0xE05CD010, 0x80129C19
.long 0xBF8C0F7E
.long 0xD3B24010, 0x18034110
.long 0xD3B24012, 0x18034512
.long 0xD3B24014, 0x18034914
.long 0xD3B24016, 0x18034D16
.long 0x81858105
.long 0xBF05CE05
.long 0xBF85044F
.long 0x80484448
.long 0x82494549
.long 0xD0C60046, 0x00000A80
.long 0xD1000019, 0x011A3106
.long 0xE05CD000, 0x8012A019
.long 0xE05CD010, 0x8012A419
.long 0xBF8C0F7E
.long 0xD3B24010, 0x18035110
.long 0xD3B24012, 0x18035512
.long 0xD3B24014, 0x18035914
.long 0xD3B24016, 0x18035D16
.long 0x81858105
.long 0xBF05CE05
.long 0xBF850439
.long 0x80484448
.long 0x82494549
.long 0xD0C60046, 0x00000A80
.long 0xD1000019, 0x011A3106
.long 0xE05CD000, 0x8012A819
.long 0xE05CD010, 0x8012AC19
.long 0xBF8C0F7E
.long 0xD3B24010, 0x18036110
.long 0xD3B24012, 0x18036512
.long 0xD3B24014, 0x18036914
.long 0xD3B24016, 0x18036D16
.long 0x81858105
.long 0xBF05CE05
.long 0xBF850423
.long 0x80484448
.long 0x82494549
.long 0xD0C60046, 0x00000A80
.long 0xD1000019, 0x011A3106
.long 0xE05CD000, 0x8012B019
.long 0xE05CD010, 0x8012B419
.long 0xBF8C0F7E
.long 0xD3B24010, 0x18037110
.long 0xD3B24012, 0x18037512
.long 0xD3B24014, 0x18037914
.long 0xD3B24016, 0x18037D16
.long 0x81858105
.long 0xBF05CE05
.long 0xBF85040D
.long 0x80484448
.long 0x82494549
.long 0xD0C60046, 0x00000A80
.long 0xD1000019, 0x011A3106
.long 0xE05CD000, 0x8012B819
.long 0xE05CD010, 0x8012BC19
.long 0xBF8C0F7E
.long 0xD3B24010, 0x18038110
.long 0xD3B24012, 0x18038512
.long 0xD3B24014, 0x18038914
.long 0xD3B24016, 0x18038D16
.long 0x81858105
.long 0xBF05CE05
.long 0xBF8503F7
.long 0x80484448
.long 0x82494549
.long 0xD0C60046, 0x00000A80
.long 0xD1000019, 0x011A3106
.long 0xE05CD000, 0x8012C019
.long 0xE05CD010, 0x8012C419
.long 0xBF8C0F7E
.long 0xD3B24010, 0x18039110
.long 0xD3B24012, 0x18039512
.long 0xD3B24014, 0x18039914
.long 0xD3B24016, 0x18039D16
.long 0x81858105
.long 0xBF05CE05
.long 0xBF8503E1
.long 0x80484448
.long 0x82494549
.long 0xD0C60046, 0x00000A80
.long 0xD1000019, 0x011A3106
.long 0xE05CD000, 0x8012C819
.long 0xE05CD010, 0x8012CC19
.long 0xBF8C0F7E
.long 0xD3B24010, 0x1803A110
.long 0xD3B24012, 0x1803A512
.long 0xD3B24014, 0x1803A914
.long 0xD3B24016, 0x1803AD16
.long 0x81858105
.long 0xBF05CE05
.long 0xBF8503CB
.long 0x80484448
.long 0x82494549
.long 0xD0C60046, 0x00000A80
.long 0xD1000019, 0x011A3106
.long 0xE05CD000, 0x8012D019
.long 0xE05CD010, 0x8012D419
.long 0xBF02CE05
.long 0xBF85FEB4
	;; [unrolled: 1-line block ×3, first 2 shown]
.long 0xD3B24010, 0x1802C110
.long 0xD3B24012, 0x1802C512
.long 0xD3B24014, 0x1802C914
.long 0xD3B24016, 0x1802CD16
.long 0xBF8C0F7C
.long 0xD3B24010, 0x1802D110
.long 0xD3B24012, 0x1802D512
.long 0xD3B24014, 0x1802D914
.long 0xD3B24016, 0x1802DD16
.long 0xBF8C0F7B
	;; [unrolled: 5-line block ×14, first 2 shown]
.long 0xBF8C0F7C
.long 0xD3B24010, 0x1802C110
.long 0xD3B24012, 0x1802C512
.long 0xD3B24014, 0x1802C914
.long 0xD3B24016, 0x1802CD16
.long 0xBF8C0F7B
.long 0xD3B24010, 0x1802D110
.long 0xD3B24012, 0x1802D512
.long 0xD3B24014, 0x1802D914
.long 0xD3B24016, 0x1802DD16
	;; [unrolled: 5-line block ×13, first 2 shown]
.long 0xBF8202CA
.long 0xBF8C0F7B
.long 0xD3B24010, 0x1802C110
.long 0xD3B24012, 0x1802C512
.long 0xD3B24014, 0x1802C914
.long 0xD3B24016, 0x1802CD16
.long 0xBF8C0F7A
.long 0xD3B24010, 0x1802D110
.long 0xD3B24012, 0x1802D512
.long 0xD3B24014, 0x1802D914
.long 0xD3B24016, 0x1802DD16
	;; [unrolled: 5-line block ×12, first 2 shown]
.long 0xBF82025D
.long 0xBF8C0F7A
.long 0xD3B24010, 0x1802C110
.long 0xD3B24012, 0x1802C512
.long 0xD3B24014, 0x1802C914
.long 0xD3B24016, 0x1802CD16
.long 0xBF8C0F79
.long 0xD3B24010, 0x1802D110
.long 0xD3B24012, 0x1802D512
.long 0xD3B24014, 0x1802D914
.long 0xD3B24016, 0x1802DD16
	;; [unrolled: 5-line block ×11, first 2 shown]
.long 0xBF8201F9
.long 0xBF8C0F79
.long 0xD3B24010, 0x1802C110
.long 0xD3B24012, 0x1802C512
.long 0xD3B24014, 0x1802C914
.long 0xD3B24016, 0x1802CD16
.long 0xBF8C0F78
.long 0xD3B24010, 0x1802D110
.long 0xD3B24012, 0x1802D512
.long 0xD3B24014, 0x1802D914
.long 0xD3B24016, 0x1802DD16
	;; [unrolled: 5-line block ×10, first 2 shown]
.long 0xBF82019E
.long 0xBF8C0F78
.long 0xD3B24010, 0x1802C110
.long 0xD3B24012, 0x1802C512
.long 0xD3B24014, 0x1802C914
.long 0xD3B24016, 0x1802CD16
.long 0xBF8C0F77
.long 0xD3B24010, 0x1802D110
.long 0xD3B24012, 0x1802D512
.long 0xD3B24014, 0x1802D914
.long 0xD3B24016, 0x1802DD16
	;; [unrolled: 5-line block ×9, first 2 shown]
.long 0xBF82014C
.long 0xBF8C0F77
.long 0xD3B24010, 0x1802C110
.long 0xD3B24012, 0x1802C512
.long 0xD3B24014, 0x1802C914
.long 0xD3B24016, 0x1802CD16
.long 0xBF8C0F76
.long 0xD3B24010, 0x1802D110
.long 0xD3B24012, 0x1802D512
.long 0xD3B24014, 0x1802D914
.long 0xD3B24016, 0x1802DD16
	;; [unrolled: 5-line block ×8, first 2 shown]
.long 0xBF820103
.long 0xBF8C0F76
.long 0xD3B24010, 0x1802C110
.long 0xD3B24012, 0x1802C512
.long 0xD3B24014, 0x1802C914
.long 0xD3B24016, 0x1802CD16
.long 0xBF8C0F75
.long 0xD3B24010, 0x1802D110
.long 0xD3B24012, 0x1802D512
.long 0xD3B24014, 0x1802D914
.long 0xD3B24016, 0x1802DD16
	;; [unrolled: 5-line block ×7, first 2 shown]
.long 0xBF8200C3
.long 0xBF8C0F75
.long 0xD3B24010, 0x1802C110
.long 0xD3B24012, 0x1802C512
.long 0xD3B24014, 0x1802C914
.long 0xD3B24016, 0x1802CD16
.long 0xBF8C0F74
.long 0xD3B24010, 0x1802D110
.long 0xD3B24012, 0x1802D512
.long 0xD3B24014, 0x1802D914
.long 0xD3B24016, 0x1802DD16
	;; [unrolled: 5-line block ×6, first 2 shown]
.long 0xBF82008C
.long 0xBF8C0F74
.long 0xD3B24010, 0x1802C110
.long 0xD3B24012, 0x1802C512
.long 0xD3B24014, 0x1802C914
.long 0xD3B24016, 0x1802CD16
.long 0xBF8C0F73
.long 0xD3B24010, 0x1802D110
.long 0xD3B24012, 0x1802D512
.long 0xD3B24014, 0x1802D914
.long 0xD3B24016, 0x1802DD16
	;; [unrolled: 5-line block ×5, first 2 shown]
.long 0xBF82005E
.long 0xBF8C0F73
.long 0xD3B24010, 0x1802C110
.long 0xD3B24012, 0x1802C512
.long 0xD3B24014, 0x1802C914
.long 0xD3B24016, 0x1802CD16
.long 0xBF8C0F72
.long 0xD3B24010, 0x1802D110
.long 0xD3B24012, 0x1802D512
.long 0xD3B24014, 0x1802D914
.long 0xD3B24016, 0x1802DD16
	;; [unrolled: 5-line block ×4, first 2 shown]
.long 0xBF820039
.long 0xBF8C0F72
.long 0xD3B24010, 0x1802C110
.long 0xD3B24012, 0x1802C512
.long 0xD3B24014, 0x1802C914
.long 0xD3B24016, 0x1802CD16
.long 0xBF8C0F71
.long 0xD3B24010, 0x1802D110
.long 0xD3B24012, 0x1802D512
.long 0xD3B24014, 0x1802D914
.long 0xD3B24016, 0x1802DD16
	;; [unrolled: 5-line block ×3, first 2 shown]
.long 0xBF82001D
.long 0xBF8C0F71
.long 0xD3B24010, 0x1802C110
.long 0xD3B24012, 0x1802C512
	;; [unrolled: 1-line block ×4, first 2 shown]
.long 0xBF8C0F70
.long 0xD3B24010, 0x1802D110
.long 0xD3B24012, 0x1802D512
	;; [unrolled: 1-line block ×4, first 2 shown]
.long 0xBF82000A
.long 0xBF8C0F70
.long 0xD3B24010, 0x1802C110
.long 0xD3B24012, 0x1802C512
	;; [unrolled: 1-line block ×4, first 2 shown]
.long 0xBF820000
.long 0x0A202030
	;; [unrolled: 1-line block ×10, first 2 shown]
.long 0xD3A00010, 0x14421031
.long 0xD3A01011, 0x14461031
	;; [unrolled: 1-line block ×8, first 2 shown]
.long 0x7E201510
.long 0x7E221511
.long 0xD2A00010, 0x00022310
.long 0x7E241512
.long 0x7E261513
.long 0xD2A00011, 0x00022712
	;; [unrolled: 3-line block ×4, first 2 shown]
.long 0xE07CD000, 0x800E1007
.long 0xBF800000
.long 0xBF800000
	;; [unrolled: 1-line block ×4, first 2 shown]
.long 0x813E84FF, 0x00000488
.long 0x803C3E3C
.long 0x823D803D
	;; [unrolled: 1-line block ×5, first 2 shown]
.long 0x863C1CFF, 0x0000007F
.long 0x803D14C1
.long 0xBF093D02
	;; [unrolled: 1-line block ×11, first 2 shown]
.long 0xD1FE0006, 0x02060103
.long 0xD3D84008, 0x18000100
	;; [unrolled: 1-line block ×9, first 2 shown]
.long 0xBF800001
.long 0xBF800000
	;; [unrolled: 1-line block ×12, first 2 shown]
.long 0xD2A00008, 0x00021308
.long 0x7E14150A
.long 0x7E16150B
.long 0xD2A00009, 0x0002170A
.long 0x7E18150C
.long 0x7E1A150D
	;; [unrolled: 3-line block ×3, first 2 shown]
.long 0xD2A0000B, 0x00021F0E
.long 0xE07CD000, 0x80030806
.long 0xBF800000
.long 0xBF800000
.long 0xBF8200DE
.long 0x7E0E02FF, 0x80000000
.long 0xD0C9003C, 0x00003900
	;; [unrolled: 1-line block ×3, first 2 shown]
.long 0x86C0403C
.long 0xD1FE0006, 0x02060103
.long 0xD1000006, 0x01020D07
	;; [unrolled: 1-line block ×10, first 2 shown]
.long 0xBF800001
.long 0xBF800000
	;; [unrolled: 1-line block ×12, first 2 shown]
.long 0xD2A00008, 0x00021308
.long 0x7E14150A
.long 0x7E16150B
.long 0xD2A00009, 0x0002170A
.long 0x7E18150C
.long 0x7E1A150D
	;; [unrolled: 3-line block ×3, first 2 shown]
.long 0xD2A0000B, 0x00021F0E
.long 0xE07CD000, 0x80030806
.long 0xBF800000
.long 0xBF800000
	;; [unrolled: 1-line block ×3, first 2 shown]
.long 0x863C1CFF, 0x0000007F
.long 0x803D14C1
.long 0xBF093D02
	;; [unrolled: 1-line block ×11, first 2 shown]
.long 0xD1FE0007, 0x02060102
.long 0xE05C1000, 0x80040807
.long 0xD1FE0006, 0x02060103
.long 0xD3D84010, 0x18000100
.long 0xD3D84011, 0x18000104
.long 0xD3D84012, 0x18000101
.long 0xD3D84013, 0x18000105
.long 0xD3D84014, 0x18000102
.long 0xD3D84015, 0x18000106
.long 0xD3D84016, 0x18000103
.long 0xD3D84017, 0x18000107
.long 0xBF800001
.long 0xBF800000
.long 0x0A202030
.long 0x0A222230
.long 0x0A242430
.long 0x0A262630
.long 0x0A282830
.long 0x0A2A2A30
.long 0x0A2C2C30
.long 0x0A2E2E30
.long 0xBF8C0F70
.long 0xD3A00010, 0x14421031
.long 0xD3A01011, 0x14461031
	;; [unrolled: 1-line block ×8, first 2 shown]
.long 0x7E201510
.long 0x7E221511
.long 0xD2A00010, 0x00022310
.long 0x7E241512
.long 0x7E261513
.long 0xD2A00011, 0x00022712
	;; [unrolled: 3-line block ×4, first 2 shown]
.long 0xE07CD000, 0x80031006
.long 0xBF800000
.long 0xBF800000
.long 0xBF820051
.long 0x7E0E02FF, 0x80000000
.long 0xD0C9003C, 0x00003900
	;; [unrolled: 1-line block ×3, first 2 shown]
.long 0x86C0403C
.long 0xD1FE0006, 0x02060102
.long 0xD1000006, 0x01020D07
	;; [unrolled: 1-line block ×13, first 2 shown]
.long 0xBF800001
.long 0xBF800000
	;; [unrolled: 1-line block ×11, first 2 shown]
.long 0xD3A00010, 0x14421031
.long 0xD3A01011, 0x14461031
	;; [unrolled: 1-line block ×8, first 2 shown]
.long 0x7E201510
.long 0x7E221511
.long 0xD2A00010, 0x00022310
.long 0x7E241512
.long 0x7E261513
.long 0xD2A00011, 0x00022712
	;; [unrolled: 3-line block ×4, first 2 shown]
.long 0xE07CD000, 0x80031006
.long 0xBF800000
.long 0xBF800000
	;; [unrolled: 1-line block ×4, first 2 shown]
